;; amdgpu-corpus repo=ROCm/rocFFT kind=compiled arch=gfx906 opt=O3
	.text
	.amdgcn_target "amdgcn-amd-amdhsa--gfx906"
	.amdhsa_code_object_version 6
	.protected	bluestein_single_back_len408_dim1_half_op_CI_CI ; -- Begin function bluestein_single_back_len408_dim1_half_op_CI_CI
	.globl	bluestein_single_back_len408_dim1_half_op_CI_CI
	.p2align	8
	.type	bluestein_single_back_len408_dim1_half_op_CI_CI,@function
bluestein_single_back_len408_dim1_half_op_CI_CI: ; @bluestein_single_back_len408_dim1_half_op_CI_CI
; %bb.0:
	v_mul_u32_u24_e32 v1, 0xf10, v0
	s_mov_b64 s[42:43], s[2:3]
	s_load_dwordx4 s[8:11], s[4:5], 0x28
	v_lshrrev_b32_e32 v1, 16, v1
	s_mov_b64 s[40:41], s[0:1]
	v_mad_u64_u32 v[23:24], s[0:1], s6, 3, v[1:2]
	v_mov_b32_e32 v24, 0
	s_add_u32 s40, s40, s7
	s_waitcnt lgkmcnt(0)
	v_cmp_gt_u64_e32 vcc, s[8:9], v[23:24]
	s_addc_u32 s41, s41, 0
	s_and_saveexec_b64 s[0:1], vcc
	s_cbranch_execz .LBB0_15
; %bb.1:
	s_load_dwordx4 s[12:15], s[4:5], 0x18
	v_mul_lo_u16_e32 v1, 17, v1
	v_sub_u16_e32 v90, v0, v1
	v_lshlrev_b32_e32 v54, 2, v90
	s_waitcnt lgkmcnt(0)
	s_load_dwordx4 s[0:3], s[12:13], 0x0
	s_waitcnt lgkmcnt(0)
	v_mad_u64_u32 v[0:1], s[6:7], s2, v23, 0
	v_mad_u64_u32 v[2:3], s[6:7], s0, v90, 0
	s_mul_i32 s6, s1, 24
	s_mul_hi_u32 s7, s0, 24
	v_mad_u64_u32 v[4:5], s[2:3], s3, v23, v[1:2]
	s_add_i32 s7, s7, s6
	s_mul_i32 s6, s0, 24
	v_mad_u64_u32 v[5:6], s[2:3], s1, v90, v[3:4]
	v_mov_b32_e32 v1, v4
	v_lshlrev_b64 v[0:1], 2, v[0:1]
	v_mov_b32_e32 v6, s11
	v_mov_b32_e32 v3, v5
	v_add_co_u32_e32 v7, vcc, s10, v0
	v_addc_co_u32_e32 v6, vcc, v6, v1, vcc
	v_lshlrev_b64 v[0:1], 2, v[2:3]
	s_load_dwordx2 s[2:3], s[4:5], 0x0
	v_add_co_u32_e32 v0, vcc, v7, v0
	v_addc_co_u32_e32 v1, vcc, v6, v1, vcc
	s_lshl_b64 s[12:13], s[6:7], 2
	v_mov_b32_e32 v8, s13
	v_add_co_u32_e32 v2, vcc, s12, v0
	v_addc_co_u32_e32 v3, vcc, v1, v8, vcc
	global_load_dword v9, v[0:1], off
	global_load_dword v10, v[2:3], off
	s_waitcnt lgkmcnt(0)
	global_load_dword v92, v54, s[2:3]
	global_load_dword v91, v54, s[2:3] offset:96
	v_or_b32_e32 v4, 0x60, v90
	v_mad_u64_u32 v[0:1], s[6:7], s0, v4, 0
	v_add_co_u32_e32 v2, vcc, s12, v2
	v_addc_co_u32_e32 v3, vcc, v3, v8, vcc
	global_load_dword v11, v[2:3], off
	global_load_dword v89, v54, s[2:3] offset:192
	s_mul_i32 s16, s0, 0xc0
	buffer_store_dword v4, off, s[40:43], 0 offset:12 ; 4-byte Folded Spill
	v_mad_u64_u32 v[4:5], s[6:7], s1, v4, v[1:2]
	v_add_co_u32_e32 v2, vcc, s12, v2
	v_addc_co_u32_e32 v3, vcc, v3, v8, vcc
	global_load_dword v5, v[2:3], off
	global_load_dword v88, v54, s[2:3] offset:288
	v_mov_b32_e32 v1, v4
	v_lshlrev_b64 v[0:1], 2, v[0:1]
	s_mov_b32 s6, 0xaaaaaaab
	v_add_co_u32_e32 v0, vcc, v7, v0
	v_addc_co_u32_e32 v1, vcc, v6, v1, vcc
	global_load_dword v12, v[0:1], off
	global_load_dword v87, v54, s[2:3] offset:384
	v_mul_hi_u32 v0, v23, s6
	s_load_dwordx2 s[6:7], s[4:5], 0x38
	s_load_dwordx4 s[8:11], s[14:15], 0x0
	v_mov_b32_e32 v1, s3
	v_add_co_u32_e32 v21, vcc, s2, v54
	v_lshrrev_b32_e32 v0, 1, v0
	v_lshl_add_u32 v0, v0, 1, v0
	s_mul_i32 s14, s1, 0xc0
	s_mul_hi_u32 s15, s0, 0xc0
	v_addc_co_u32_e32 v22, vcc, 0, v1, vcc
	v_sub_u32_e32 v0, v23, v0
	s_add_i32 s17, s15, s14
	v_mul_u32_u24_e32 v55, 0x198, v0
	v_mov_b32_e32 v1, s17
	v_add_co_u32_e32 v0, vcc, s16, v2
	v_addc_co_u32_e32 v1, vcc, v3, v1, vcc
	v_lshlrev_b32_e32 v85, 2, v55
	v_add_u32_e32 v70, v54, v85
	global_load_dword v86, v54, s[2:3] offset:480
	global_load_dword v84, v54, s[2:3] offset:576
	;; [unrolled: 1-line block ×3, first 2 shown]
	global_load_dword v13, v[0:1], off
	v_add_co_u32_e32 v0, vcc, s12, v0
	v_addc_co_u32_e32 v1, vcc, v1, v8, vcc
	s_waitcnt vmcnt(14)
	v_lshrrev_b32_e32 v2, 16, v9
	s_waitcnt vmcnt(12)
	v_mul_f16_sdwa v3, v92, v9 dst_sel:DWORD dst_unused:UNUSED_PAD src0_sel:WORD_1 src1_sel:DWORD
	v_mul_f16_sdwa v4, v92, v2 dst_sel:DWORD dst_unused:UNUSED_PAD src0_sel:WORD_1 src1_sel:DWORD
	v_fma_f16 v2, v92, v2, -v3
	v_lshrrev_b32_e32 v3, 16, v10
	s_waitcnt vmcnt(11)
	v_mul_f16_sdwa v14, v91, v10 dst_sel:DWORD dst_unused:UNUSED_PAD src0_sel:WORD_1 src1_sel:DWORD
	v_fma_f16 v4, v92, v9, v4
	v_mul_f16_sdwa v9, v91, v3 dst_sel:DWORD dst_unused:UNUSED_PAD src0_sel:WORD_1 src1_sel:DWORD
	v_fma_f16 v3, v91, v3, -v14
	v_pack_b32_f16 v2, v4, v2
	v_fma_f16 v4, v91, v10, v9
	v_pack_b32_f16 v3, v4, v3
	ds_write2_b32 v70, v2, v3 offset1:24
	s_waitcnt vmcnt(10)
	v_lshrrev_b32_e32 v2, 16, v11
	s_waitcnt vmcnt(9)
	v_mul_f16_sdwa v3, v89, v2 dst_sel:DWORD dst_unused:UNUSED_PAD src0_sel:WORD_1 src1_sel:DWORD
	v_mul_f16_sdwa v4, v89, v11 dst_sel:DWORD dst_unused:UNUSED_PAD src0_sel:WORD_1 src1_sel:DWORD
	v_fma_f16 v3, v89, v11, v3
	v_fma_f16 v2, v89, v2, -v4
	v_pack_b32_f16 v2, v3, v2
	s_waitcnt vmcnt(7)
	v_lshrrev_b32_e32 v3, 16, v5
	s_waitcnt vmcnt(6)
	v_mul_f16_sdwa v4, v88, v3 dst_sel:DWORD dst_unused:UNUSED_PAD src0_sel:WORD_1 src1_sel:DWORD
	v_fma_f16 v4, v88, v5, v4
	v_mul_f16_sdwa v5, v88, v5 dst_sel:DWORD dst_unused:UNUSED_PAD src0_sel:WORD_1 src1_sel:DWORD
	v_fma_f16 v3, v88, v3, -v5
	v_pack_b32_f16 v3, v4, v3
	v_or_b32_e32 v4, 0xc0, v90
	ds_write2_b32 v70, v2, v3 offset0:48 offset1:72
	v_mad_u64_u32 v[2:3], s[14:15], s0, v4, 0
	buffer_store_dword v4, off, s[40:43], 0 offset:8 ; 4-byte Folded Spill
	global_load_dword v10, v[0:1], off
	v_mad_u64_u32 v[3:4], s[14:15], s1, v4, v[3:4]
	v_add_co_u32_e32 v0, vcc, s12, v0
	v_addc_co_u32_e32 v1, vcc, v1, v8, vcc
	global_load_dword v11, v[0:1], off
	v_lshlrev_b64 v[2:3], 2, v[2:3]
	v_or_b32_e32 v4, 0x120, v90
	v_add_co_u32_e32 v2, vcc, v7, v2
	v_addc_co_u32_e32 v3, vcc, v6, v3, vcc
	global_load_dword v14, v[2:3], off
	v_mov_b32_e32 v2, s17
	v_add_co_u32_e32 v0, vcc, s16, v0
	v_addc_co_u32_e32 v1, vcc, v1, v2, vcc
	global_load_dword v15, v[0:1], off
	global_load_dword v82, v54, s[2:3] offset:768
	global_load_dword v80, v54, s[2:3] offset:864
	v_mad_u64_u32 v[2:3], s[14:15], s0, v4, 0
	v_add_co_u32_e32 v0, vcc, s12, v0
	v_addc_co_u32_e32 v1, vcc, v1, v8, vcc
	buffer_store_dword v4, off, s[40:43], 0 offset:4 ; 4-byte Folded Spill
	v_mad_u64_u32 v[3:4], s[14:15], s1, v4, v[3:4]
	global_load_dword v16, v[0:1], off
	v_add_co_u32_e32 v0, vcc, s12, v0
	v_addc_co_u32_e32 v1, vcc, v1, v8, vcc
	global_load_dword v17, v[0:1], off
	global_load_dword v79, v54, s[2:3] offset:960
	global_load_dword v78, v54, s[2:3] offset:1056
	v_lshlrev_b64 v[2:3], 2, v[2:3]
	v_or_b32_e32 v4, 0x180, v90
	v_add_co_u32_e32 v2, vcc, v7, v2
	v_addc_co_u32_e32 v3, vcc, v6, v3, vcc
	global_load_dword v18, v[2:3], off
	v_mov_b32_e32 v2, s17
	v_add_co_u32_e32 v0, vcc, s16, v0
	v_addc_co_u32_e32 v1, vcc, v1, v2, vcc
	global_load_dword v19, v[0:1], off
	global_load_dword v77, v54, s[2:3] offset:1152
	global_load_dword v75, v54, s[2:3] offset:1248
	v_mad_u64_u32 v[2:3], s[14:15], s0, v4, 0
	v_add_co_u32_e32 v0, vcc, s12, v0
	v_addc_co_u32_e32 v1, vcc, v1, v8, vcc
	global_load_dword v20, v[0:1], off
	global_load_dword v74, v54, s[2:3] offset:1344
	v_add_co_u32_e32 v0, vcc, s12, v0
	buffer_store_dword v4, off, s[40:43], 0 ; 4-byte Folded Spill
	v_mad_u64_u32 v[3:4], s[14:15], s1, v4, v[3:4]
	v_addc_co_u32_e32 v1, vcc, v1, v8, vcc
	global_load_dword v4, v[0:1], off
	global_load_dword v73, v54, s[2:3] offset:1440
	v_lshlrev_b64 v[2:3], 2, v[2:3]
	s_waitcnt vmcnt(26)
	v_lshrrev_b32_e32 v5, 16, v12
	v_add_co_u32_e32 v2, vcc, v7, v2
	v_addc_co_u32_e32 v3, vcc, v6, v3, vcc
	global_load_dword v6, v[2:3], off
	global_load_dword v72, v54, s[2:3] offset:1536
	s_waitcnt vmcnt(27)
	v_mul_f16_sdwa v9, v87, v5 dst_sel:DWORD dst_unused:UNUSED_PAD src0_sel:WORD_1 src1_sel:DWORD
	v_mul_f16_sdwa v3, v87, v12 dst_sel:DWORD dst_unused:UNUSED_PAD src0_sel:WORD_1 src1_sel:DWORD
	v_fma_f16 v2, v87, v12, v9
	v_fma_f16 v3, v87, v5, -v3
	v_pack_b32_f16 v2, v2, v3
	s_waitcnt vmcnt(23)
	v_lshrrev_b32_e32 v3, 16, v13
	v_mul_f16_sdwa v5, v86, v3 dst_sel:DWORD dst_unused:UNUSED_PAD src0_sel:WORD_1 src1_sel:DWORD
	v_mul_f16_sdwa v7, v86, v13 dst_sel:DWORD dst_unused:UNUSED_PAD src0_sel:WORD_1 src1_sel:DWORD
	v_fma_f16 v5, v86, v13, v5
	v_fma_f16 v3, v86, v3, -v7
	v_pack_b32_f16 v3, v5, v3
	ds_write2_b32 v70, v2, v3 offset0:96 offset1:120
	s_waitcnt vmcnt(21)
	v_lshrrev_b32_e32 v2, 16, v10
	v_mul_f16_sdwa v3, v84, v2 dst_sel:DWORD dst_unused:UNUSED_PAD src0_sel:WORD_1 src1_sel:DWORD
	v_mul_f16_sdwa v5, v84, v10 dst_sel:DWORD dst_unused:UNUSED_PAD src0_sel:WORD_1 src1_sel:DWORD
	v_fma_f16 v3, v84, v10, v3
	v_fma_f16 v2, v84, v2, -v5
	v_pack_b32_f16 v2, v3, v2
	s_waitcnt vmcnt(20)
	v_lshrrev_b32_e32 v3, 16, v11
	v_mul_f16_sdwa v5, v83, v3 dst_sel:DWORD dst_unused:UNUSED_PAD src0_sel:WORD_1 src1_sel:DWORD
	v_mul_f16_sdwa v7, v83, v11 dst_sel:DWORD dst_unused:UNUSED_PAD src0_sel:WORD_1 src1_sel:DWORD
	v_fma_f16 v5, v83, v11, v5
	v_fma_f16 v3, v83, v3, -v7
	v_pack_b32_f16 v3, v5, v3
	ds_write2_b32 v70, v2, v3 offset0:144 offset1:168
	s_waitcnt vmcnt(19)
	v_lshrrev_b32_e32 v2, 16, v14
	v_cmp_gt_u16_e32 vcc, 7, v90
	s_waitcnt vmcnt(17)
	v_mul_f16_sdwa v3, v82, v2 dst_sel:DWORD dst_unused:UNUSED_PAD src0_sel:WORD_1 src1_sel:DWORD
	v_mul_f16_sdwa v5, v82, v14 dst_sel:DWORD dst_unused:UNUSED_PAD src0_sel:WORD_1 src1_sel:DWORD
	v_fma_f16 v3, v82, v14, v3
	v_fma_f16 v2, v82, v2, -v5
	v_pack_b32_f16 v2, v3, v2
	v_lshrrev_b32_e32 v3, 16, v15
	s_waitcnt vmcnt(16)
	v_mul_f16_sdwa v5, v80, v3 dst_sel:DWORD dst_unused:UNUSED_PAD src0_sel:WORD_1 src1_sel:DWORD
	v_mul_f16_sdwa v7, v80, v15 dst_sel:DWORD dst_unused:UNUSED_PAD src0_sel:WORD_1 src1_sel:DWORD
	v_fma_f16 v5, v80, v15, v5
	v_fma_f16 v3, v80, v3, -v7
	v_pack_b32_f16 v3, v5, v3
	ds_write2_b32 v70, v2, v3 offset0:192 offset1:216
	s_waitcnt vmcnt(14)
	v_lshrrev_b32_e32 v2, 16, v16
	s_waitcnt vmcnt(12)
	v_mul_f16_sdwa v3, v79, v2 dst_sel:DWORD dst_unused:UNUSED_PAD src0_sel:WORD_1 src1_sel:DWORD
	v_mul_f16_sdwa v5, v79, v16 dst_sel:DWORD dst_unused:UNUSED_PAD src0_sel:WORD_1 src1_sel:DWORD
	v_fma_f16 v3, v79, v16, v3
	v_fma_f16 v2, v79, v2, -v5
	v_pack_b32_f16 v3, v3, v2
	v_lshrrev_b32_e32 v2, 16, v17
	s_waitcnt vmcnt(11)
	v_mul_f16_sdwa v5, v78, v2 dst_sel:DWORD dst_unused:UNUSED_PAD src0_sel:WORD_1 src1_sel:DWORD
	v_mul_f16_sdwa v7, v78, v17 dst_sel:DWORD dst_unused:UNUSED_PAD src0_sel:WORD_1 src1_sel:DWORD
	v_fma_f16 v5, v78, v17, v5
	v_fma_f16 v2, v78, v2, -v7
	v_pack_b32_f16 v5, v5, v2
	v_add_u32_e32 v2, 0x200, v70
	ds_write2_b32 v2, v3, v5 offset0:112 offset1:136
	s_waitcnt vmcnt(10)
	v_lshrrev_b32_e32 v3, 16, v18
	s_waitcnt vmcnt(8)
	v_mul_f16_sdwa v5, v77, v3 dst_sel:DWORD dst_unused:UNUSED_PAD src0_sel:WORD_1 src1_sel:DWORD
	v_mul_f16_sdwa v7, v77, v18 dst_sel:DWORD dst_unused:UNUSED_PAD src0_sel:WORD_1 src1_sel:DWORD
	v_fma_f16 v5, v77, v18, v5
	v_fma_f16 v3, v77, v3, -v7
	v_pack_b32_f16 v5, v5, v3
	v_lshrrev_b32_e32 v3, 16, v19
	s_waitcnt vmcnt(7)
	v_mul_f16_sdwa v7, v75, v3 dst_sel:DWORD dst_unused:UNUSED_PAD src0_sel:WORD_1 src1_sel:DWORD
	v_mul_f16_sdwa v8, v75, v19 dst_sel:DWORD dst_unused:UNUSED_PAD src0_sel:WORD_1 src1_sel:DWORD
	v_fma_f16 v7, v75, v19, v7
	v_fma_f16 v3, v75, v3, -v8
	v_pack_b32_f16 v7, v7, v3
	v_add_u32_e32 v3, 0x400, v70
	ds_write2_b32 v3, v5, v7 offset0:32 offset1:56
	s_waitcnt vmcnt(6)
	v_lshrrev_b32_e32 v5, 16, v20
	s_waitcnt vmcnt(5)
	v_mul_f16_sdwa v7, v74, v5 dst_sel:DWORD dst_unused:UNUSED_PAD src0_sel:WORD_1 src1_sel:DWORD
	v_mul_f16_sdwa v8, v74, v20 dst_sel:DWORD dst_unused:UNUSED_PAD src0_sel:WORD_1 src1_sel:DWORD
	v_fma_f16 v7, v74, v20, v7
	v_fma_f16 v5, v74, v5, -v8
	v_pack_b32_f16 v5, v7, v5
	s_waitcnt vmcnt(3)
	v_lshrrev_b32_e32 v7, 16, v4
	s_waitcnt vmcnt(2)
	v_mul_f16_sdwa v8, v73, v7 dst_sel:DWORD dst_unused:UNUSED_PAD src0_sel:WORD_1 src1_sel:DWORD
	v_fma_f16 v8, v73, v4, v8
	v_mul_f16_sdwa v4, v73, v4 dst_sel:DWORD dst_unused:UNUSED_PAD src0_sel:WORD_1 src1_sel:DWORD
	v_fma_f16 v4, v73, v7, -v4
	v_pack_b32_f16 v4, v8, v4
	ds_write2_b32 v3, v5, v4 offset0:80 offset1:104
	s_waitcnt vmcnt(1)
	v_lshrrev_b32_e32 v4, 16, v6
	s_waitcnt vmcnt(0)
	v_mul_f16_sdwa v5, v72, v4 dst_sel:DWORD dst_unused:UNUSED_PAD src0_sel:WORD_1 src1_sel:DWORD
	v_fma_f16 v5, v72, v6, v5
	v_mul_f16_sdwa v6, v72, v6 dst_sel:DWORD dst_unused:UNUSED_PAD src0_sel:WORD_1 src1_sel:DWORD
	v_fma_f16 v4, v72, v4, -v6
	v_pack_b32_f16 v4, v5, v4
	ds_write_b32 v70, v4 offset:1536
	s_and_saveexec_b64 s[14:15], vcc
	s_cbranch_execz .LBB0_3
; %bb.2:
	v_mov_b32_e32 v4, 0xfffffaa4
	v_mad_u64_u32 v[0:1], s[16:17], s0, v4, v[0:1]
	s_mulk_i32 s1, 0xfaa4
	s_sub_i32 s0, s1, s0
	v_add_u32_e32 v1, s0, v1
	global_load_dword v4, v[0:1], off
	global_load_dword v5, v[21:22], off offset:68
	v_mov_b32_e32 v6, s13
	v_add_co_u32_e64 v0, s[0:1], s12, v0
	v_addc_co_u32_e64 v1, s[0:1], v1, v6, s[0:1]
	global_load_dword v7, v[0:1], off
	global_load_dword v8, v[21:22], off offset:164
	v_add_co_u32_e64 v0, s[0:1], s12, v0
	v_addc_co_u32_e64 v1, s[0:1], v1, v6, s[0:1]
	global_load_dword v9, v[0:1], off
	global_load_dword v10, v[21:22], off offset:260
	;; [unrolled: 4-line block ×3, first 2 shown]
	global_load_dword v13, v[21:22], off offset:452
	global_load_dword v14, v[21:22], off offset:548
	;; [unrolled: 1-line block ×7, first 2 shown]
	v_add_co_u32_e64 v0, s[0:1], s12, v0
	v_addc_co_u32_e64 v1, s[0:1], v1, v6, s[0:1]
	global_load_dword v20, v[0:1], off
	v_add_co_u32_e64 v0, s[0:1], s12, v0
	v_addc_co_u32_e64 v1, s[0:1], v1, v6, s[0:1]
	global_load_dword v24, v[0:1], off
	;; [unrolled: 3-line block ×7, first 2 shown]
	v_add_co_u32_e64 v0, s[0:1], s12, v0
	v_addc_co_u32_e64 v1, s[0:1], v1, v6, s[0:1]
	s_waitcnt vmcnt(21)
	v_lshrrev_b32_e32 v30, 16, v4
	s_waitcnt vmcnt(20)
	v_mul_f16_sdwa v31, v5, v4 dst_sel:DWORD dst_unused:UNUSED_PAD src0_sel:WORD_1 src1_sel:DWORD
	v_mul_f16_sdwa v32, v5, v30 dst_sel:DWORD dst_unused:UNUSED_PAD src0_sel:WORD_1 src1_sel:DWORD
	v_fma_f16 v30, v5, v30, -v31
	v_fma_f16 v4, v5, v4, v32
	v_pack_b32_f16 v4, v4, v30
	s_waitcnt vmcnt(19)
	v_lshrrev_b32_e32 v31, 16, v7
	s_waitcnt vmcnt(18)
	v_mul_f16_sdwa v33, v8, v7 dst_sel:DWORD dst_unused:UNUSED_PAD src0_sel:WORD_1 src1_sel:DWORD
	v_mul_f16_sdwa v5, v8, v31 dst_sel:DWORD dst_unused:UNUSED_PAD src0_sel:WORD_1 src1_sel:DWORD
	v_fma_f16 v31, v8, v31, -v33
	v_fma_f16 v5, v8, v7, v5
	s_waitcnt vmcnt(17)
	v_lshrrev_b32_e32 v32, 16, v9
	s_waitcnt vmcnt(16)
	v_mul_f16_sdwa v33, v10, v9 dst_sel:DWORD dst_unused:UNUSED_PAD src0_sel:WORD_1 src1_sel:DWORD
	v_mul_f16_sdwa v7, v10, v32 dst_sel:DWORD dst_unused:UNUSED_PAD src0_sel:WORD_1 src1_sel:DWORD
	v_pack_b32_f16 v5, v5, v31
	v_fma_f16 v8, v10, v32, -v33
	v_fma_f16 v7, v10, v9, v7
	ds_write2_b32 v70, v4, v5 offset0:17 offset1:41
	v_pack_b32_f16 v4, v7, v8
	global_load_dword v7, v[0:1], off
	global_load_dword v8, v[21:22], off offset:1124
	s_waitcnt vmcnt(17)
	v_lshrrev_b32_e32 v30, 16, v11
	v_add_co_u32_e64 v0, s[0:1], s12, v0
	s_waitcnt vmcnt(16)
	v_mul_f16_sdwa v9, v12, v30 dst_sel:DWORD dst_unused:UNUSED_PAD src0_sel:WORD_1 src1_sel:DWORD
	v_addc_co_u32_e64 v1, s[0:1], v1, v6, s[0:1]
	v_mul_f16_sdwa v32, v12, v11 dst_sel:DWORD dst_unused:UNUSED_PAD src0_sel:WORD_1 src1_sel:DWORD
	v_fma_f16 v5, v12, v11, v9
	global_load_dword v10, v[0:1], off
	global_load_dword v11, v[21:22], off offset:1220
	v_add_co_u32_e64 v0, s[0:1], s12, v0
	v_addc_co_u32_e64 v1, s[0:1], v1, v6, s[0:1]
	v_fma_f16 v9, v12, v30, -v32
	global_load_dword v12, v[0:1], off
	global_load_dword v30, v[21:22], off offset:1316
	v_add_co_u32_e64 v0, s[0:1], s12, v0
	v_addc_co_u32_e64 v1, s[0:1], v1, v6, s[0:1]
	v_pack_b32_f16 v5, v5, v9
	global_load_dword v9, v[0:1], off
	global_load_dword v31, v[21:22], off offset:1412
	v_add_co_u32_e64 v0, s[0:1], s12, v0
	v_addc_co_u32_e64 v1, s[0:1], v1, v6, s[0:1]
	global_load_dword v32, v[0:1], off
	global_load_dword v33, v[21:22], off offset:1508
	v_add_co_u32_e64 v0, s[0:1], s12, v0
	ds_write2_b32 v70, v4, v5 offset0:65 offset1:89
	v_addc_co_u32_e64 v1, s[0:1], v1, v6, s[0:1]
	global_load_dword v4, v[0:1], off
	global_load_dword v5, v[21:22], off offset:1604
	s_waitcnt vmcnt(18)
	v_lshrrev_b32_e32 v0, 16, v20
	v_mul_f16_sdwa v1, v13, v0 dst_sel:DWORD dst_unused:UNUSED_PAD src0_sel:WORD_1 src1_sel:DWORD
	v_mul_f16_sdwa v6, v13, v20 dst_sel:DWORD dst_unused:UNUSED_PAD src0_sel:WORD_1 src1_sel:DWORD
	v_fma_f16 v1, v13, v20, v1
	v_fma_f16 v0, v13, v0, -v6
	v_pack_b32_f16 v0, v1, v0
	s_waitcnt vmcnt(17)
	v_lshrrev_b32_e32 v1, 16, v24
	v_mul_f16_sdwa v6, v14, v1 dst_sel:DWORD dst_unused:UNUSED_PAD src0_sel:WORD_1 src1_sel:DWORD
	v_mul_f16_sdwa v13, v14, v24 dst_sel:DWORD dst_unused:UNUSED_PAD src0_sel:WORD_1 src1_sel:DWORD
	v_fma_f16 v6, v14, v24, v6
	v_fma_f16 v1, v14, v1, -v13
	v_pack_b32_f16 v1, v6, v1
	ds_write2_b32 v70, v0, v1 offset0:113 offset1:137
	s_waitcnt vmcnt(16)
	v_lshrrev_b32_e32 v0, 16, v25
	v_mul_f16_sdwa v1, v15, v0 dst_sel:DWORD dst_unused:UNUSED_PAD src0_sel:WORD_1 src1_sel:DWORD
	v_mul_f16_sdwa v6, v15, v25 dst_sel:DWORD dst_unused:UNUSED_PAD src0_sel:WORD_1 src1_sel:DWORD
	v_fma_f16 v1, v15, v25, v1
	v_fma_f16 v0, v15, v0, -v6
	v_pack_b32_f16 v0, v1, v0
	s_waitcnt vmcnt(15)
	v_lshrrev_b32_e32 v1, 16, v26
	v_mul_f16_sdwa v6, v16, v1 dst_sel:DWORD dst_unused:UNUSED_PAD src0_sel:WORD_1 src1_sel:DWORD
	v_mul_f16_sdwa v13, v16, v26 dst_sel:DWORD dst_unused:UNUSED_PAD src0_sel:WORD_1 src1_sel:DWORD
	v_fma_f16 v6, v16, v26, v6
	v_fma_f16 v1, v16, v1, -v13
	v_pack_b32_f16 v1, v6, v1
	ds_write2_b32 v70, v0, v1 offset0:161 offset1:185
	;; [unrolled: 15-line block ×3, first 2 shown]
	s_waitcnt vmcnt(12)
	v_lshrrev_b32_e32 v0, 16, v29
	v_mul_f16_sdwa v1, v19, v0 dst_sel:DWORD dst_unused:UNUSED_PAD src0_sel:WORD_1 src1_sel:DWORD
	v_mul_f16_sdwa v6, v19, v29 dst_sel:DWORD dst_unused:UNUSED_PAD src0_sel:WORD_1 src1_sel:DWORD
	v_fma_f16 v1, v19, v29, v1
	v_fma_f16 v0, v19, v0, -v6
	v_pack_b32_f16 v0, v1, v0
	s_waitcnt vmcnt(11)
	v_lshrrev_b32_e32 v1, 16, v7
	s_waitcnt vmcnt(10)
	v_mul_f16_sdwa v6, v8, v1 dst_sel:DWORD dst_unused:UNUSED_PAD src0_sel:WORD_1 src1_sel:DWORD
	v_fma_f16 v6, v8, v7, v6
	v_mul_f16_sdwa v7, v8, v7 dst_sel:DWORD dst_unused:UNUSED_PAD src0_sel:WORD_1 src1_sel:DWORD
	v_fma_f16 v1, v8, v1, -v7
	v_pack_b32_f16 v1, v6, v1
	ds_write2_b32 v3, v0, v1 offset0:1 offset1:25
	s_waitcnt vmcnt(9)
	v_lshrrev_b32_e32 v0, 16, v10
	s_waitcnt vmcnt(8)
	v_mul_f16_sdwa v1, v11, v0 dst_sel:DWORD dst_unused:UNUSED_PAD src0_sel:WORD_1 src1_sel:DWORD
	v_mul_f16_sdwa v6, v11, v10 dst_sel:DWORD dst_unused:UNUSED_PAD src0_sel:WORD_1 src1_sel:DWORD
	v_fma_f16 v1, v11, v10, v1
	v_fma_f16 v0, v11, v0, -v6
	v_pack_b32_f16 v0, v1, v0
	s_waitcnt vmcnt(7)
	v_lshrrev_b32_e32 v1, 16, v12
	s_waitcnt vmcnt(6)
	v_mul_f16_sdwa v6, v30, v1 dst_sel:DWORD dst_unused:UNUSED_PAD src0_sel:WORD_1 src1_sel:DWORD
	v_mul_f16_sdwa v7, v30, v12 dst_sel:DWORD dst_unused:UNUSED_PAD src0_sel:WORD_1 src1_sel:DWORD
	v_fma_f16 v6, v30, v12, v6
	v_fma_f16 v1, v30, v1, -v7
	v_pack_b32_f16 v1, v6, v1
	ds_write2_b32 v3, v0, v1 offset0:49 offset1:73
	s_waitcnt vmcnt(5)
	v_lshrrev_b32_e32 v0, 16, v9
	s_waitcnt vmcnt(4)
	v_mul_f16_sdwa v1, v31, v0 dst_sel:DWORD dst_unused:UNUSED_PAD src0_sel:WORD_1 src1_sel:DWORD
	v_mul_f16_sdwa v6, v31, v9 dst_sel:DWORD dst_unused:UNUSED_PAD src0_sel:WORD_1 src1_sel:DWORD
	v_fma_f16 v1, v31, v9, v1
	v_fma_f16 v0, v31, v0, -v6
	v_pack_b32_f16 v0, v1, v0
	s_waitcnt vmcnt(3)
	v_lshrrev_b32_e32 v1, 16, v32
	s_waitcnt vmcnt(2)
	v_mul_f16_sdwa v6, v33, v1 dst_sel:DWORD dst_unused:UNUSED_PAD src0_sel:WORD_1 src1_sel:DWORD
	v_mul_f16_sdwa v7, v33, v32 dst_sel:DWORD dst_unused:UNUSED_PAD src0_sel:WORD_1 src1_sel:DWORD
	v_fma_f16 v6, v33, v32, v6
	v_fma_f16 v1, v33, v1, -v7
	v_pack_b32_f16 v1, v6, v1
	ds_write2_b32 v3, v0, v1 offset0:97 offset1:121
	s_waitcnt vmcnt(1)
	v_lshrrev_b32_e32 v0, 16, v4
	s_waitcnt vmcnt(0)
	v_mul_f16_sdwa v1, v5, v0 dst_sel:DWORD dst_unused:UNUSED_PAD src0_sel:WORD_1 src1_sel:DWORD
	v_fma_f16 v1, v5, v4, v1
	v_mul_f16_sdwa v4, v5, v4 dst_sel:DWORD dst_unused:UNUSED_PAD src0_sel:WORD_1 src1_sel:DWORD
	v_fma_f16 v0, v5, v0, -v4
	v_pack_b32_f16 v0, v1, v0
	ds_write_b32 v70, v0 offset:1604
.LBB0_3:
	s_or_b64 exec, exec, s[14:15]
	s_waitcnt lgkmcnt(0)
	; wave barrier
	s_waitcnt lgkmcnt(0)
	ds_read2_b32 v[16:17], v70 offset1:24
	ds_read2_b32 v[30:31], v70 offset0:48 offset1:72
	ds_read2_b32 v[34:35], v70 offset0:96 offset1:120
	;; [unrolled: 1-line block ×7, first 2 shown]
	ds_read_b32 v101, v70 offset:1536
	s_load_dwordx2 s[4:5], s[4:5], 0x8
	v_mov_b32_e32 v0, 0
                                        ; implicit-def: $vgpr3
                                        ; implicit-def: $vgpr6
                                        ; implicit-def: $vgpr5
                                        ; implicit-def: $vgpr12
                                        ; implicit-def: $vgpr9
                                        ; implicit-def: $vgpr14
                                        ; implicit-def: $vgpr11
                                        ; implicit-def: $vgpr20
	s_and_saveexec_b64 s[0:1], vcc
	s_cbranch_execz .LBB0_5
; %bb.4:
	ds_read2_b32 v[0:1], v70 offset0:17 offset1:41
	ds_read2_b32 v[10:11], v70 offset0:65 offset1:89
	;; [unrolled: 1-line block ×5, first 2 shown]
	v_add_u32_e32 v14, 0x400, v70
	ds_read2_b32 v[6:7], v14 offset0:1 offset1:25
	ds_read2_b32 v[12:13], v14 offset0:49 offset1:73
	ds_read2_b32 v[14:15], v14 offset0:97 offset1:121
	ds_read_b32 v20, v70 offset:1604
.LBB0_5:
	s_or_b64 exec, exec, s[0:1]
	s_waitcnt lgkmcnt(0)
	v_pk_add_f16 v69, v1, v20 neg_lo:[0,1] neg_hi:[0,1]
	s_mov_b32 s19, 0xb5c8
	v_pk_add_f16 v50, v20, v1
	s_movk_i32 s18, 0x3b76
	v_mul_f16_sdwa v42, v69, s19 dst_sel:DWORD dst_unused:UNUSED_PAD src0_sel:WORD_1 src1_sel:DWORD
	s_mov_b32 s24, 0xb964
	v_pk_add_f16 v95, v10, v15 neg_lo:[0,1] neg_hi:[0,1]
	v_fma_f16 v24, v50, s18, v42
	s_movk_i32 s12, 0x39e9
	v_mul_f16_sdwa v43, v69, s24 dst_sel:DWORD dst_unused:UNUSED_PAD src0_sel:WORD_1 src1_sel:DWORD
	s_mov_b32 s25, 0xbb29
	s_mov_b32 s21, 0xbbf7
	v_pk_add_f16 v51, v15, v10
	v_mul_f16_sdwa v44, v95, s24 dst_sel:DWORD dst_unused:UNUSED_PAD src0_sel:WORD_1 src1_sel:DWORD
	v_pk_add_f16 v96, v11, v14 neg_lo:[0,1] neg_hi:[0,1]
	v_fma_f16 v25, v50, s12, v43
	s_movk_i32 s13, 0x3722
	s_movk_i32 s14, 0x2de8
	s_mov_b32 s22, 0xba62
	v_fma_f16 v26, v51, s12, v44
	v_mul_f16_sdwa v45, v95, s21 dst_sel:DWORD dst_unused:UNUSED_PAD src0_sel:WORD_1 src1_sel:DWORD
	v_pk_add_f16 v52, v14, v11
	v_mul_f16_sdwa v46, v96, s25 dst_sel:DWORD dst_unused:UNUSED_PAD src0_sel:WORD_1 src1_sel:DWORD
	v_pk_add_f16 v97, v8, v13 neg_lo:[0,1] neg_hi:[0,1]
	v_add_f16_e32 v24, v24, v0
	s_mov_b32 s1, 0xbbb2
	s_mov_b32 s15, 0xb8d2
	;; [unrolled: 1-line block ×3, first 2 shown]
	v_fma_f16 v27, v51, s14, v45
	v_fma_f16 v28, v52, s13, v46
	v_mul_f16_sdwa v47, v96, s22 dst_sel:DWORD dst_unused:UNUSED_PAD src0_sel:WORD_1 src1_sel:DWORD
	v_pk_add_f16 v56, v13, v8
	v_mul_f16_sdwa v48, v97, s21 dst_sel:DWORD dst_unused:UNUSED_PAD src0_sel:WORD_1 src1_sel:DWORD
	v_add_f16_e32 v24, v26, v24
	v_add_f16_e32 v25, v25, v0
	v_pk_add_f16 v98, v9, v12 neg_lo:[0,1] neg_hi:[0,1]
	s_mov_b32 s0, 0xb461
	s_mov_b32 s17, 0xbbdd
	s_movk_i32 s30, 0x3836
	v_fma_f16 v29, v52, s15, v47
	v_fma_f16 v57, v56, s14, v48
	v_mul_f16_sdwa v49, v97, s20 dst_sel:DWORD dst_unused:UNUSED_PAD src0_sel:WORD_1 src1_sel:DWORD
	v_pk_add_f16 v64, v12, v9
	v_add_f16_e32 v25, v27, v25
	v_add_f16_e32 v24, v28, v24
	v_mul_f16_sdwa v53, v98, s1 dst_sel:DWORD dst_unused:UNUSED_PAD src0_sel:WORD_1 src1_sel:DWORD
	v_pk_add_f16 v100, v4, v7 neg_lo:[0,1] neg_hi:[0,1]
	s_mov_b32 s16, 0xbacd
	v_fma_f16 v59, v56, s17, v49
	v_add_f16_e32 v25, v29, v25
	v_fma_f16 v26, v64, s0, v53
	v_add_f16_e32 v24, v57, v24
	v_mul_f16_sdwa v58, v98, s30 dst_sel:DWORD dst_unused:UNUSED_PAD src0_sel:WORD_1 src1_sel:DWORD
	v_pk_add_f16 v113, v7, v4
	v_mul_f16_sdwa v57, v100, s22 dst_sel:DWORD dst_unused:UNUSED_PAD src0_sel:WORD_1 src1_sel:DWORD
	s_movk_i32 s34, 0x3bb2
	v_add_f16_e32 v25, v59, v25
	v_fma_f16 v27, v64, s16, v58
	v_add_f16_e32 v24, v26, v24
	v_fma_f16 v26, v113, s15, v57
	v_mul_f16_sdwa v61, v100, s34 dst_sel:DWORD dst_unused:UNUSED_PAD src0_sel:WORD_1 src1_sel:DWORD
	s_mov_b32 s26, 0xb836
	v_pk_add_f16 v99, v5, v6 neg_lo:[0,1] neg_hi:[0,1]
	v_add_f16_e32 v25, v27, v25
	v_add_f16_e32 v24, v26, v24
	v_fma_f16 v26, v113, s0, v61
	v_pk_add_f16 v118, v6, v5
	v_mul_f16_sdwa v59, v99, s26 dst_sel:DWORD dst_unused:UNUSED_PAD src0_sel:WORD_1 src1_sel:DWORD
	s_movk_i32 s28, 0x3b29
	v_add_f16_e32 v25, v26, v25
	v_fma_f16 v26, v118, s16, v59
	v_mul_f16_sdwa v62, v99, s28 dst_sel:DWORD dst_unused:UNUSED_PAD src0_sel:WORD_1 src1_sel:DWORD
	v_pk_add_f16 v136, v2, v3 neg_lo:[0,1] neg_hi:[0,1]
	v_add_f16_e32 v24, v26, v24
	v_fma_f16 v26, v118, s13, v62
	s_movk_i32 s31, 0x35c8
	v_pk_add_f16 v119, v3, v2
	v_mul_f16_sdwa v60, v136, s20 dst_sel:DWORD dst_unused:UNUSED_PAD src0_sel:WORD_1 src1_sel:DWORD
	v_add_f16_e32 v26, v26, v25
	v_fma_f16 v25, v119, s17, v60
	v_mul_f16_sdwa v63, v136, s31 dst_sel:DWORD dst_unused:UNUSED_PAD src0_sel:WORD_1 src1_sel:DWORD
	v_add_f16_e32 v25, v25, v24
	v_fma_f16 v24, v119, s18, v63
	;; [unrolled: 3-line block ×5, first 2 shown]
	v_mul_f16_sdwa v110, v95, s20 dst_sel:DWORD dst_unused:UNUSED_PAD src0_sel:WORD_1 src1_sel:DWORD
	s_movk_i32 s35, 0x31e1
	v_add_f16_e32 v27, v27, v0
	v_fma_f16 v28, v51, s17, v110
	v_mul_f16_sdwa v67, v96, s35 dst_sel:DWORD dst_unused:UNUSED_PAD src0_sel:WORD_1 src1_sel:DWORD
	v_add_f16_e32 v27, v28, v27
	v_fma_f16 v28, v52, s17, v67
	v_mul_f16_sdwa v111, v96, s34 dst_sel:DWORD dst_unused:UNUSED_PAD src0_sel:WORD_1 src1_sel:DWORD
	;; [unrolled: 3-line block ×4, first 2 shown]
	s_movk_i32 s23, 0x3964
	v_add_f16_e32 v26, v28, v26
	v_fma_f16 v28, v56, s18, v112
	v_mul_f16_sdwa v105, v98, s23 dst_sel:DWORD dst_unused:UNUSED_PAD src0_sel:WORD_1 src1_sel:DWORD
	v_add_f16_e32 v27, v28, v27
	v_fma_f16 v28, v64, s12, v105
	v_mul_f16_sdwa v114, v98, s25 dst_sel:DWORD dst_unused:UNUSED_PAD src0_sel:WORD_1 src1_sel:DWORD
	;; [unrolled: 3-line block ×5, first 2 shown]
	s_movk_i32 s27, 0x3a62
	v_add_f16_e32 v27, v28, v27
	v_fma_f16 v28, v118, s14, v107
	v_mul_f16_sdwa v116, v99, s27 dst_sel:DWORD dst_unused:UNUSED_PAD src0_sel:WORD_1 src1_sel:DWORD
	v_add_f16_e32 v26, v28, v26
	v_fma_f16 v28, v118, s15, v116
	v_mul_f16_sdwa v108, v136, s26 dst_sel:DWORD dst_unused:UNUSED_PAD src0_sel:WORD_1 src1_sel:DWORD
	;; [unrolled: 3-line block ×12, first 2 shown]
	s_movk_i32 s33, 0x3bf7
	v_add_f16_e32 v29, v94, v29
	v_fma_f16 v94, v64, s17, v124
	v_mul_f16_sdwa v132, v98, s33 dst_sel:DWORD dst_unused:UNUSED_PAD src0_sel:WORD_1 src1_sel:DWORD
	v_add_f16_e32 v28, v94, v28
	v_fma_f16 v94, v64, s14, v132
	v_mul_f16_sdwa v125, v100, s33 dst_sel:DWORD dst_unused:UNUSED_PAD src0_sel:WORD_1 src1_sel:DWORD
	;; [unrolled: 3-line block ×7, first 2 shown]
	v_add_f16_e32 v29, v29, v28
	v_fma_f16 v28, v119, s13, v135
	v_add_f16_e32 v28, v28, v94
	v_pk_add_f16 v94, v16, v17
	v_pk_add_f16 v94, v94, v30
	;; [unrolled: 1-line block ×8, first 2 shown]
	v_pk_add_f16 v151, v40, v39 neg_lo:[0,1] neg_hi:[0,1]
	v_pk_add_f16 v40, v38, v41
	v_pk_add_f16 v160, v41, v38 neg_lo:[0,1] neg_hi:[0,1]
	v_pk_add_f16 v41, v94, v18
	v_pk_add_f16 v41, v41, v19
	;; [unrolled: 1-line block ×5, first 2 shown]
	v_pk_add_f16 v163, v34, v37 neg_lo:[0,1] neg_hi:[0,1]
	v_pk_add_f16 v34, v36, v35
	v_pk_add_f16 v162, v35, v36 neg_lo:[0,1] neg_hi:[0,1]
	v_pk_add_f16 v35, v39, v36
	;; [unrolled: 2-line block ×3, first 2 shown]
	v_pk_add_f16 v165, v101, v17
	v_mul_f16_sdwa v171, v170, s19 dst_sel:DWORD dst_unused:UNUSED_PAD src0_sel:WORD_1 src1_sel:DWORD
	v_pk_add_f16 v35, v33, v30
	v_pk_add_f16 v169, v30, v33 neg_lo:[0,1] neg_hi:[0,1]
	v_pk_add_f16 v30, v32, v31
	v_pk_add_f16 v168, v31, v32 neg_lo:[0,1] neg_hi:[0,1]
	v_pk_add_f16 v31, v36, v32
	v_fma_f16 v17, v165, s18, -v171
	v_pk_add_f16 v164, v31, v33
	v_add_f16_e32 v31, v16, v17
	v_mul_f16_sdwa v17, v169, s24 dst_sel:DWORD dst_unused:UNUSED_PAD src0_sel:WORD_1 src1_sel:DWORD
	v_fma_f16 v32, v35, s12, -v17
	s_mov_b32 s36, 0x3b7639e9
	v_add_f16_e32 v32, v32, v31
	s_mov_b32 s37, 0xb964b5c8
	v_pk_mul_f16 v31, v165, s36
	s_mov_b32 s29, 0xffff
	v_pk_fma_f16 v172, v170, s37, v31 op_sel:[0,0,1] op_sel_hi:[1,1,0] neg_lo:[1,0,0] neg_hi:[1,0,0]
	v_pk_fma_f16 v173, v170, s37, v31 op_sel:[0,0,1] op_sel_hi:[1,1,0]
	s_mov_b32 s36, 0x39e92de8
	v_bfi_b32 v31, s29, v173, v172
	s_mov_b32 s37, 0xbbf7b964
	v_pk_mul_f16 v33, v35, s36
	v_pk_add_f16 v36, v16, v31 op_sel:[1,0] op_sel_hi:[0,1]
	v_pk_fma_f16 v31, v169, s37, v33 op_sel:[0,0,1] op_sel_hi:[1,1,0] neg_lo:[1,0,0] neg_hi:[1,0,0]
	v_pk_fma_f16 v33, v169, s37, v33 op_sel:[0,0,1] op_sel_hi:[1,1,0]
	v_bfi_b32 v37, s29, v33, v31
	v_lshrrev_b32_e32 v174, 16, v165
	v_mul_f16_e32 v175, 0xb964, v170
	v_pk_add_f16 v37, v37, v36
	v_fma_f16 v36, v174, s12, v175
	v_lshrrev_b32_e32 v102, 16, v35
	v_mul_f16_e32 v103, 0xbbf7, v169
	v_add_f16_sdwa v36, v16, v36 dst_sel:DWORD dst_unused:UNUSED_PAD src0_sel:WORD_1 src1_sel:DWORD
	v_fma_f16 v39, v102, s14, v103
	v_add_f16_e32 v39, v39, v36
	v_mul_f16_sdwa v36, v168, s25 dst_sel:DWORD dst_unused:UNUSED_PAD src0_sel:WORD_1 src1_sel:DWORD
	s_mov_b32 s36, 0x3722b8d2
	v_fma_f16 v41, v30, s13, -v36
	s_mov_b32 s37, 0xba62bb29
	v_pk_mul_f16 v94, v30, s36
	v_add_f16_e32 v41, v41, v32
	v_pk_fma_f16 v32, v168, s37, v94 op_sel:[0,0,1] op_sel_hi:[1,1,0] neg_lo:[1,0,0] neg_hi:[1,0,0]
	v_pk_fma_f16 v144, v168, s37, v94 op_sel:[0,0,1] op_sel_hi:[1,1,0]
	v_bfi_b32 v94, s29, v144, v32
	v_lshrrev_b32_e32 v104, 16, v30
	v_mul_f16_e32 v145, 0xba62, v168
	v_pk_add_f16 v94, v94, v37
	v_fma_f16 v37, v104, s15, v145
	v_add_f16_e32 v138, v37, v39
	v_mul_f16_sdwa v39, v163, s21 dst_sel:DWORD dst_unused:UNUSED_PAD src0_sel:WORD_1 src1_sel:DWORD
	s_mov_b32 s36, 0x2de8bbdd
	v_fma_f16 v37, v38, s14, -v39
	s_mov_b32 s37, 0xb1e1bbf7
	v_pk_mul_f16 v139, v38, s36
	v_add_f16_e32 v41, v37, v41
	v_pk_fma_f16 v37, v163, s37, v139 op_sel:[0,0,1] op_sel_hi:[1,1,0] neg_lo:[1,0,0] neg_hi:[1,0,0]
	v_pk_fma_f16 v147, v163, s37, v139 op_sel:[0,0,1] op_sel_hi:[1,1,0]
	v_bfi_b32 v139, s29, v147, v37
	v_lshrrev_b32_e32 v146, 16, v38
	v_mul_f16_e32 v148, 0xb1e1, v163
	v_pk_add_f16 v94, v139, v94
	v_fma_f16 v139, v146, s17, v148
	v_add_f16_e32 v139, v139, v138
	v_mul_f16_sdwa v138, v162, s1 dst_sel:DWORD dst_unused:UNUSED_PAD src0_sel:WORD_1 src1_sel:DWORD
	v_fma_f16 v140, v34, s0, -v138
	s_mov_b32 s36, 0xb461bacd
	v_add_f16_e32 v141, v140, v41
	s_mov_b32 s37, 0x3836bbb2
	v_pk_mul_f16 v140, v34, s36
	v_pk_fma_f16 v41, v162, s37, v140 op_sel:[0,0,1] op_sel_hi:[1,1,0] neg_lo:[1,0,0] neg_hi:[1,0,0]
	v_pk_fma_f16 v150, v162, s37, v140 op_sel:[0,0,1] op_sel_hi:[1,1,0]
	v_bfi_b32 v140, s29, v150, v41
	v_lshrrev_b32_e32 v149, 16, v34
	v_mul_f16_e32 v153, 0x3836, v162
	v_pk_add_f16 v94, v140, v94
	v_fma_f16 v140, v149, s16, v153
	v_add_f16_e32 v142, v140, v139
	v_mul_f16_sdwa v140, v151, s22 dst_sel:DWORD dst_unused:UNUSED_PAD src0_sel:WORD_1 src1_sel:DWORD
	v_fma_f16 v139, v137, s15, -v140
	s_mov_b32 s36, 0xb8d2b461
	v_add_f16_e32 v143, v139, v141
	s_mov_b32 s37, 0x3bb2ba62
	v_pk_mul_f16 v141, v137, s36
	;; [unrolled: 14-line block ×3, first 2 shown]
	v_pk_fma_f16 v142, v160, s37, v143 op_sel:[0,0,1] op_sel_hi:[1,1,0] neg_lo:[1,0,0] neg_hi:[1,0,0]
	v_pk_fma_f16 v152, v160, s37, v143 op_sel:[0,0,1] op_sel_hi:[1,1,0]
	v_bfi_b32 v143, s29, v152, v142
	v_lshrrev_b32_e32 v157, 16, v40
	v_mul_f16_e32 v158, 0x3b29, v160
	v_pk_add_f16 v94, v143, v94
	v_fma_f16 v143, v157, s13, v158
	v_add_f16_e32 v176, v143, v159
	v_pk_add_f16 v159, v18, v19 neg_lo:[0,1] neg_hi:[0,1]
	v_pk_add_f16 v143, v19, v18
	v_mul_f16_sdwa v18, v159, s20 dst_sel:DWORD dst_unused:UNUSED_PAD src0_sel:WORD_1 src1_sel:DWORD
	v_fma_f16 v19, v143, s17, -v18
	s_mov_b32 s37, 0xbbdd3b76
	v_add_f16_e32 v177, v19, v161
	s_mov_b32 s36, 0x35c8b1e1
	v_pk_mul_f16 v161, v143, s37
	v_pk_fma_f16 v19, v159, s36, v161 op_sel:[0,0,1] op_sel_hi:[1,1,0] neg_lo:[1,0,0] neg_hi:[1,0,0]
	v_pk_fma_f16 v166, v159, s36, v161 op_sel:[0,0,1] op_sel_hi:[1,1,0]
	v_bfi_b32 v166, s29, v166, v19
	v_pk_add_f16 v94, v166, v94
	v_lshrrev_b32_e32 v166, 16, v143
	v_mul_f16_e32 v167, 0x35c8, v159
	v_fma_f16 v178, v166, s18, v167
	v_add_f16_e32 v176, v178, v176
	v_alignbit_b32 v176, v176, v94, 16
	v_pack_b32_f16 v177, v177, v94
	v_mul_lo_u16_e32 v94, 17, v90
	v_lshl_add_u32 v94, v94, 2, v85
	s_waitcnt lgkmcnt(0)
	; wave barrier
	ds_write2_b32 v94, v177, v176 offset0:1 offset1:2
	v_mul_f16_sdwa v176, v170, s25 dst_sel:DWORD dst_unused:UNUSED_PAD src0_sel:WORD_1 src1_sel:DWORD
	v_fma_f16 v177, v165, s13, -v176
	v_mul_f16_sdwa v178, v169, s22 dst_sel:DWORD dst_unused:UNUSED_PAD src0_sel:WORD_1 src1_sel:DWORD
	v_add_f16_e32 v177, v16, v177
	v_fma_f16 v179, v35, s15, -v178
	v_add_f16_e32 v177, v179, v177
	v_mul_f16_e32 v179, 0xbb29, v170
	v_fma_f16 v180, v174, s13, v179
	v_mul_f16_e32 v181, 0xba62, v169
	v_add_f16_sdwa v180, v16, v180 dst_sel:DWORD dst_unused:UNUSED_PAD src0_sel:WORD_1 src1_sel:DWORD
	v_fma_f16 v182, v102, s15, v181
	v_add_f16_e32 v180, v182, v180
	v_mul_f16_sdwa v182, v170, s21 dst_sel:DWORD dst_unused:UNUSED_PAD src0_sel:WORD_1 src1_sel:DWORD
	v_fma_f16 v183, v165, s14, -v182
	v_mul_f16_sdwa v184, v169, s20 dst_sel:DWORD dst_unused:UNUSED_PAD src0_sel:WORD_1 src1_sel:DWORD
	v_add_f16_e32 v183, v16, v183
	v_fma_f16 v185, v35, s17, -v184
	v_add_f16_e32 v183, v185, v183
	v_mul_f16_e32 v185, 0xbbf7, v170
	v_fma_f16 v186, v174, s14, v185
	v_mul_f16_e32 v187, 0xb1e1, v169
	v_add_f16_sdwa v186, v16, v186 dst_sel:DWORD dst_unused:UNUSED_PAD src0_sel:WORD_1 src1_sel:DWORD
	v_fma_f16 v188, v102, s17, v187
	v_add_f16_e32 v186, v188, v186
	v_mul_f16_sdwa v188, v168, s35 dst_sel:DWORD dst_unused:UNUSED_PAD src0_sel:WORD_1 src1_sel:DWORD
	v_fma_f16 v189, v30, s17, -v188
	v_add_f16_e32 v177, v189, v177
	v_mul_f16_e32 v189, 0x31e1, v168
	v_fma_f16 v190, v104, s17, v189
	v_add_f16_e32 v180, v190, v180
	v_mul_f16_sdwa v190, v168, s34 dst_sel:DWORD dst_unused:UNUSED_PAD src0_sel:WORD_1 src1_sel:DWORD
	v_fma_f16 v191, v30, s0, -v190
	v_add_f16_e32 v183, v191, v183
	v_mul_f16_e32 v191, 0x3bb2, v168
	v_fma_f16 v192, v104, s0, v191
	v_add_f16_e32 v186, v192, v186
	v_mul_f16_sdwa v192, v163, s34 dst_sel:DWORD dst_unused:UNUSED_PAD src0_sel:WORD_1 src1_sel:DWORD
	v_fma_f16 v193, v38, s0, -v192
	v_add_f16_e32 v177, v193, v177
	v_mul_f16_e32 v193, 0x3bb2, v163
	v_fma_f16 v194, v146, s0, v193
	v_add_f16_e32 v180, v194, v180
	v_mul_f16_sdwa v194, v163, s31 dst_sel:DWORD dst_unused:UNUSED_PAD src0_sel:WORD_1 src1_sel:DWORD
	v_fma_f16 v195, v38, s18, -v194
	v_add_f16_e32 v183, v195, v183
	v_mul_f16_e32 v195, 0x35c8, v163
	v_fma_f16 v196, v146, s18, v195
	v_add_f16_e32 v186, v196, v186
	v_mul_f16_sdwa v196, v162, s23 dst_sel:DWORD dst_unused:UNUSED_PAD src0_sel:WORD_1 src1_sel:DWORD
	v_fma_f16 v197, v34, s12, -v196
	v_add_f16_e32 v177, v197, v177
	v_mul_f16_e32 v197, 0x3964, v162
	v_fma_f16 v198, v149, s12, v197
	v_add_f16_e32 v180, v198, v180
	v_mul_f16_sdwa v198, v162, s25 dst_sel:DWORD dst_unused:UNUSED_PAD src0_sel:WORD_1 src1_sel:DWORD
	v_fma_f16 v199, v34, s13, -v198
	v_add_f16_e32 v183, v199, v183
	v_mul_f16_e32 v199, 0xbb29, v162
	v_fma_f16 v200, v149, s13, v199
	v_add_f16_e32 v186, v200, v186
	v_mul_f16_sdwa v200, v151, s19 dst_sel:DWORD dst_unused:UNUSED_PAD src0_sel:WORD_1 src1_sel:DWORD
	v_fma_f16 v201, v137, s18, -v200
	v_add_f16_e32 v177, v201, v177
	v_mul_f16_e32 v201, 0xb5c8, v151
	v_fma_f16 v202, v154, s18, v201
	v_add_f16_e32 v180, v202, v180
	v_mul_f16_sdwa v202, v151, s26 dst_sel:DWORD dst_unused:UNUSED_PAD src0_sel:WORD_1 src1_sel:DWORD
	v_fma_f16 v203, v137, s16, -v202
	v_add_f16_e32 v183, v203, v183
	v_mul_f16_e32 v203, 0xb836, v151
	v_fma_f16 v204, v154, s16, v203
	v_add_f16_e32 v186, v204, v186
	v_mul_f16_sdwa v204, v160, s21 dst_sel:DWORD dst_unused:UNUSED_PAD src0_sel:WORD_1 src1_sel:DWORD
	v_fma_f16 v205, v40, s14, -v204
	v_add_f16_e32 v177, v205, v177
	v_mul_f16_e32 v205, 0xbbf7, v160
	v_fma_f16 v206, v157, s14, v205
	v_add_f16_e32 v180, v206, v180
	v_mul_f16_sdwa v206, v160, s27 dst_sel:DWORD dst_unused:UNUSED_PAD src0_sel:WORD_1 src1_sel:DWORD
	v_fma_f16 v207, v40, s15, -v206
	v_add_f16_e32 v183, v207, v183
	v_mul_f16_e32 v207, 0x3a62, v160
	v_fma_f16 v208, v157, s15, v207
	v_add_f16_e32 v186, v208, v186
	v_mul_f16_sdwa v208, v159, s26 dst_sel:DWORD dst_unused:UNUSED_PAD src0_sel:WORD_1 src1_sel:DWORD
	v_fma_f16 v209, v143, s16, -v208
	v_add_f16_e32 v177, v209, v177
	v_mul_f16_e32 v209, 0xbacd, v166
	v_fma_f16 v210, v159, s26, v209
	v_add_f16_e32 v180, v210, v180
	v_mul_f16_sdwa v210, v159, s23 dst_sel:DWORD dst_unused:UNUSED_PAD src0_sel:WORD_1 src1_sel:DWORD
	v_fma_f16 v211, v143, s12, -v210
	v_add_f16_e32 v183, v211, v183
	v_mul_f16_e32 v211, 0x3964, v159
	v_fma_f16 v212, v166, s12, v211
	v_add_f16_e32 v186, v212, v186
	v_pack_b32_f16 v183, v183, v186
	v_pack_b32_f16 v177, v177, v180
	ds_write2_b32 v94, v177, v183 offset0:3 offset1:4
	v_mul_f16_sdwa v177, v170, s1 dst_sel:DWORD dst_unused:UNUSED_PAD src0_sel:WORD_1 src1_sel:DWORD
	v_fma_f16 v180, v165, s0, -v177
	v_mul_f16_sdwa v183, v169, s30 dst_sel:DWORD dst_unused:UNUSED_PAD src0_sel:WORD_1 src1_sel:DWORD
	v_add_f16_e32 v180, v16, v180
	v_fma_f16 v186, v35, s16, -v183
	v_add_f16_e32 v180, v186, v180
	v_mul_f16_e32 v186, 0xbbb2, v170
	v_fma_f16 v212, v174, s0, v186
	v_mul_f16_e32 v213, 0x3836, v169
	v_add_f16_sdwa v212, v16, v212 dst_sel:DWORD dst_unused:UNUSED_PAD src0_sel:WORD_1 src1_sel:DWORD
	v_fma_f16 v214, v102, s16, v213
	v_add_f16_e32 v212, v214, v212
	v_mul_f16_sdwa v214, v170, s22 dst_sel:DWORD dst_unused:UNUSED_PAD src0_sel:WORD_1 src1_sel:DWORD
	v_fma_f16 v215, v165, s15, -v214
	v_mul_f16_sdwa v216, v169, s34 dst_sel:DWORD dst_unused:UNUSED_PAD src0_sel:WORD_1 src1_sel:DWORD
	v_add_f16_e32 v215, v16, v215
	v_fma_f16 v217, v35, s0, -v216
	v_add_f16_e32 v215, v217, v215
	v_mul_f16_e32 v217, 0xba62, v170
	v_fma_f16 v218, v174, s15, v217
	v_mul_f16_e32 v219, 0x3bb2, v169
	v_add_f16_sdwa v218, v16, v218 dst_sel:DWORD dst_unused:UNUSED_PAD src0_sel:WORD_1 src1_sel:DWORD
	v_fma_f16 v220, v102, s0, v219
	v_add_f16_e32 v218, v220, v218
	v_mul_f16_sdwa v220, v168, s23 dst_sel:DWORD dst_unused:UNUSED_PAD src0_sel:WORD_1 src1_sel:DWORD
	v_fma_f16 v221, v30, s12, -v220
	v_add_f16_e32 v180, v221, v180
	v_mul_f16_e32 v221, 0x3964, v168
	v_fma_f16 v222, v104, s12, v221
	v_add_f16_e32 v212, v222, v212
	v_mul_f16_sdwa v222, v168, s19 dst_sel:DWORD dst_unused:UNUSED_PAD src0_sel:WORD_1 src1_sel:DWORD
	v_fma_f16 v223, v30, s18, -v222
	v_add_f16_e32 v215, v223, v215
	v_mul_f16_e32 v223, 0xb5c8, v168
	v_fma_f16 v224, v104, s18, v223
	v_add_f16_e32 v218, v224, v218
	v_mul_f16_sdwa v224, v163, s25 dst_sel:DWORD dst_unused:UNUSED_PAD src0_sel:WORD_1 src1_sel:DWORD
	v_fma_f16 v225, v38, s13, -v224
	v_add_f16_e32 v180, v225, v180
	v_mul_f16_e32 v225, 0xbb29, v163
	v_fma_f16 v226, v146, s13, v225
	v_add_f16_e32 v212, v226, v212
	v_mul_f16_sdwa v226, v163, s26 dst_sel:DWORD dst_unused:UNUSED_PAD src0_sel:WORD_1 src1_sel:DWORD
	v_fma_f16 v227, v38, s16, -v226
	v_add_f16_e32 v215, v227, v215
	v_mul_f16_e32 v227, 0xb836, v163
	v_fma_f16 v228, v146, s16, v227
	v_add_f16_e32 v218, v228, v218
	v_mul_f16_sdwa v228, v162, s20 dst_sel:DWORD dst_unused:UNUSED_PAD src0_sel:WORD_1 src1_sel:DWORD
	v_fma_f16 v229, v34, s17, -v228
	v_add_f16_e32 v180, v229, v180
	v_mul_f16_e32 v229, 0xb1e1, v162
	v_fma_f16 v230, v149, s17, v229
	v_add_f16_e32 v212, v230, v212
	v_mul_f16_sdwa v230, v162, s33 dst_sel:DWORD dst_unused:UNUSED_PAD src0_sel:WORD_1 src1_sel:DWORD
	v_fma_f16 v231, v34, s14, -v230
	v_add_f16_e32 v215, v231, v215
	v_mul_f16_e32 v231, 0x3bf7, v162
	v_fma_f16 v232, v149, s14, v231
	v_add_f16_e32 v218, v232, v218
	v_mul_f16_sdwa v232, v151, s33 dst_sel:DWORD dst_unused:UNUSED_PAD src0_sel:WORD_1 src1_sel:DWORD
	v_fma_f16 v233, v137, s14, -v232
	v_add_f16_e32 v180, v233, v180
	v_mul_f16_e32 v233, 0x3bf7, v151
	v_fma_f16 v234, v154, s14, v233
	v_add_f16_e32 v212, v234, v212
	v_mul_f16_sdwa v234, v151, s24 dst_sel:DWORD dst_unused:UNUSED_PAD src0_sel:WORD_1 src1_sel:DWORD
	v_fma_f16 v235, v137, s12, -v234
	v_add_f16_e32 v215, v235, v215
	v_mul_f16_e32 v235, 0xb964, v151
	v_fma_f16 v236, v154, s12, v235
	v_add_f16_e32 v218, v236, v218
	v_mul_f16_sdwa v236, v160, s19 dst_sel:DWORD dst_unused:UNUSED_PAD src0_sel:WORD_1 src1_sel:DWORD
	v_fma_f16 v237, v40, s18, -v236
	v_add_f16_e32 v180, v237, v180
	v_mul_f16_e32 v237, 0xb5c8, v160
	v_fma_f16 v238, v157, s18, v237
	v_add_f16_e32 v212, v238, v212
	v_mul_f16_sdwa v238, v160, s20 dst_sel:DWORD dst_unused:UNUSED_PAD src0_sel:WORD_1 src1_sel:DWORD
	v_fma_f16 v239, v40, s17, -v238
	v_add_f16_e32 v215, v239, v215
	v_mul_f16_e32 v239, 0xb1e1, v160
	v_fma_f16 v240, v157, s17, v239
	v_add_f16_e32 v218, v240, v218
	v_mul_f16_sdwa v240, v159, s22 dst_sel:DWORD dst_unused:UNUSED_PAD src0_sel:WORD_1 src1_sel:DWORD
	v_fma_f16 v241, v143, s15, -v240
	v_add_f16_e32 v180, v241, v180
	v_mul_f16_e32 v241, 0xba62, v159
	v_fma_f16 v242, v166, s15, v241
	v_add_f16_e32 v212, v242, v212
	v_mul_f16_sdwa v242, v159, s28 dst_sel:DWORD dst_unused:UNUSED_PAD src0_sel:WORD_1 src1_sel:DWORD
	v_fma_f16 v243, v143, s13, -v242
	v_add_f16_e32 v215, v243, v215
	v_mul_f16_e32 v243, 0x3b29, v159
	v_fma_f16 v244, v166, s13, v243
	v_add_f16_e32 v218, v244, v218
	v_pack_b32_f16 v215, v215, v218
	v_pack_b32_f16 v180, v180, v212
	v_pk_add_f16 v101, v164, v101
	v_mul_f16_sdwa v164, v170, s26 dst_sel:DWORD dst_unused:UNUSED_PAD src0_sel:WORD_1 src1_sel:DWORD
	ds_write2_b32 v94, v180, v215 offset0:5 offset1:6
	v_fma_f16 v180, v165, s16, -v164
	v_mul_f16_sdwa v212, v169, s28 dst_sel:DWORD dst_unused:UNUSED_PAD src0_sel:WORD_1 src1_sel:DWORD
	v_add_f16_e32 v180, v16, v180
	v_fma_f16 v215, v35, s13, -v212
	v_add_f16_e32 v180, v215, v180
	v_mul_f16_e32 v215, 0xb836, v170
	v_fma_f16 v218, v174, s16, v215
	v_mul_f16_e32 v244, 0x3b29, v169
	v_add_f16_sdwa v218, v16, v218 dst_sel:DWORD dst_unused:UNUSED_PAD src0_sel:WORD_1 src1_sel:DWORD
	v_fma_f16 v245, v102, s13, v244
	v_add_f16_e32 v218, v245, v218
	v_mul_f16_sdwa v245, v168, s21 dst_sel:DWORD dst_unused:UNUSED_PAD src0_sel:WORD_1 src1_sel:DWORD
	v_fma_f16 v246, v30, s14, -v245
	v_add_f16_e32 v180, v246, v180
	v_mul_f16_e32 v246, 0xbbf7, v168
	v_fma_f16 v247, v104, s14, v246
	v_add_f16_e32 v218, v247, v218
	v_mul_f16_sdwa v247, v163, s27 dst_sel:DWORD dst_unused:UNUSED_PAD src0_sel:WORD_1 src1_sel:DWORD
	v_fma_f16 v248, v38, s15, -v247
	v_add_f16_e32 v180, v248, v180
	v_mul_f16_e32 v248, 0x3a62, v163
	;; [unrolled: 6-line block ×6, first 2 shown]
	v_fma_f16 v76, v166, s0, v180
	v_add_f16_e32 v76, v76, v218
	v_pack_b32_f16 v71, v71, v76
	ds_write2_b32 v94, v101, v71 offset1:7
	v_fma_f16 v71, v174, s12, -v175
	v_fma_f16 v175, v174, s0, -v186
	v_fma_f16 v186, v165, s16, v164
	v_pk_mul_f16 v164, v165, s17 op_sel_hi:[1,0]
	v_fma_f16 v76, v174, s13, -v179
	v_fma_f16 v101, v174, s14, -v185
	;; [unrolled: 1-line block ×4, first 2 shown]
	v_fma_f16 v171, v165, s18, v171
	v_fma_f16 v176, v165, s13, v176
	;; [unrolled: 1-line block ×5, first 2 shown]
	v_pk_fma_f16 v214, v170, s20, v164 op_sel:[0,0,1] op_sel_hi:[1,0,0] neg_lo:[1,0,0] neg_hi:[1,0,0]
	v_pk_fma_f16 v170, v170, s20, v164 op_sel:[0,0,1] op_sel_hi:[1,0,0]
	v_add_f16_e32 v164, v16, v171
	v_pk_add_f16 v171, v16, v173 op_sel:[1,0] op_sel_hi:[0,1]
	v_add_f16_sdwa v71, v16, v71 dst_sel:DWORD dst_unused:UNUSED_PAD src0_sel:WORD_1 src1_sel:DWORD
	v_add_f16_e32 v173, v16, v176
	v_add_f16_sdwa v76, v16, v76 dst_sel:DWORD dst_unused:UNUSED_PAD src0_sel:WORD_1 src1_sel:DWORD
	v_add_f16_e32 v176, v16, v182
	v_add_f16_sdwa v101, v16, v101 dst_sel:DWORD dst_unused:UNUSED_PAD src0_sel:WORD_1 src1_sel:DWORD
	v_add_f16_e32 v177, v16, v177
	v_add_f16_sdwa v175, v16, v175 dst_sel:DWORD dst_unused:UNUSED_PAD src0_sel:WORD_1 src1_sel:DWORD
	v_add_f16_e32 v182, v16, v185
	v_add_f16_sdwa v179, v16, v179 dst_sel:DWORD dst_unused:UNUSED_PAD src0_sel:WORD_1 src1_sel:DWORD
	v_add_f16_e32 v185, v16, v186
	v_add_f16_sdwa v174, v16, v174 dst_sel:DWORD dst_unused:UNUSED_PAD src0_sel:WORD_1 src1_sel:DWORD
	v_add_f16_sdwa v165, v16, v172 dst_sel:DWORD dst_unused:UNUSED_PAD src0_sel:WORD_1 src1_sel:DWORD
	v_pk_add_f16 v172, v16, v214 op_sel:[1,0] op_sel_hi:[0,1]
	v_pk_add_f16 v16, v16, v170 op_sel:[1,0] op_sel_hi:[0,1]
	v_pk_mul_f16 v170, v35, s18 op_sel_hi:[1,0]
	v_pk_fma_f16 v186, v169, s31, v170 op_sel:[0,0,1] op_sel_hi:[1,0,0] neg_lo:[1,0,0] neg_hi:[1,0,0]
	v_pk_fma_f16 v169, v169, s31, v170 op_sel:[0,0,1] op_sel_hi:[1,0,0]
	v_pk_add_f16 v16, v169, v16
	v_pk_mul_f16 v169, v30, s16 op_sel_hi:[1,0]
	v_pk_fma_f16 v170, v168, s26, v169 op_sel:[0,0,1] op_sel_hi:[1,0,0] neg_lo:[1,0,0] neg_hi:[1,0,0]
	v_pk_fma_f16 v168, v168, s26, v169 op_sel:[0,0,1] op_sel_hi:[1,0,0]
	v_pk_add_f16 v16, v168, v16
	;; [unrolled: 4-line block ×4, first 2 shown]
	v_pk_add_f16 v16, v162, v16
	v_pk_mul_f16 v162, v137, s13 op_sel_hi:[1,0]
	v_pk_add_f16 v170, v170, v172
	v_pk_fma_f16 v163, v151, s28, v162 op_sel:[0,0,1] op_sel_hi:[1,0,0] neg_lo:[1,0,0] neg_hi:[1,0,0]
	v_pk_fma_f16 v151, v151, s28, v162 op_sel:[0,0,1] op_sel_hi:[1,0,0]
	v_pk_add_f16 v169, v169, v170
	v_pk_add_f16 v16, v151, v16
	v_pk_mul_f16 v151, v40, s0 op_sel_hi:[1,0]
	v_pk_add_f16 v168, v168, v169
	v_pk_fma_f16 v162, v160, s1, v151 op_sel:[0,0,1] op_sel_hi:[1,0,0] neg_lo:[1,0,0] neg_hi:[1,0,0]
	v_pk_fma_f16 v151, v160, s1, v151 op_sel:[0,0,1] op_sel_hi:[1,0,0]
	v_pk_add_f16 v163, v163, v168
	;; [unrolled: 6-line block ×3, first 2 shown]
	v_pk_add_f16 v16, v151, v16
	v_alignbit_b32 v151, v160, v16, 16
	v_alignbit_b32 v16, v16, v160, 16
	ds_write2_b32 v94, v16, v151 offset0:8 offset1:9
	v_fma_f16 v16, v35, s0, v216
	v_add_f16_e32 v16, v16, v182
	v_fma_f16 v151, v102, s0, -v219
	v_fma_f16 v163, v30, s18, v222
	v_add_f16_e32 v151, v151, v179
	v_fma_f16 v160, v35, s13, v212
	v_add_f16_e32 v16, v163, v16
	v_fma_f16 v163, v104, s18, -v223
	v_add_f16_e32 v160, v160, v185
	v_fma_f16 v162, v102, s13, -v244
	v_add_f16_e32 v151, v163, v151
	v_fma_f16 v163, v30, s14, v245
	v_add_f16_e32 v162, v162, v174
	v_add_f16_e32 v160, v163, v160
	v_fma_f16 v163, v104, s14, -v246
	v_add_f16_e32 v162, v163, v162
	v_fma_f16 v163, v38, s16, v226
	v_add_f16_e32 v16, v163, v16
	v_fma_f16 v163, v146, s16, -v227
	v_add_f16_e32 v151, v163, v151
	v_fma_f16 v163, v38, s15, v247
	;; [unrolled: 4-line block ×10, first 2 shown]
	v_add_f16_e32 v160, v163, v160
	v_fma_f16 v163, v166, s0, -v180
	v_add_f16_e32 v162, v163, v162
	v_pack_b32_f16 v16, v16, v151
	v_pack_b32_f16 v151, v160, v162
	ds_write2_b32 v94, v151, v16 offset0:10 offset1:11
	v_fma_f16 v16, v35, s17, v184
	v_add_f16_e32 v16, v16, v176
	v_fma_f16 v151, v102, s17, -v187
	v_fma_f16 v162, v30, s0, v190
	v_add_f16_e32 v101, v151, v101
	v_fma_f16 v151, v35, s16, v183
	v_add_f16_e32 v16, v162, v16
	v_fma_f16 v162, v104, s0, -v191
	v_add_f16_e32 v151, v151, v177
	v_fma_f16 v160, v102, s16, -v213
	v_add_f16_e32 v101, v162, v101
	v_fma_f16 v162, v30, s12, v220
	v_add_f16_e32 v160, v160, v175
	v_add_f16_e32 v151, v162, v151
	v_fma_f16 v162, v104, s12, -v221
	v_add_f16_e32 v160, v162, v160
	v_fma_f16 v162, v38, s18, v194
	v_add_f16_e32 v16, v162, v16
	v_fma_f16 v162, v146, s18, -v195
	v_add_f16_e32 v101, v162, v101
	v_fma_f16 v162, v38, s13, v224
	;; [unrolled: 4-line block ×10, first 2 shown]
	v_add_f16_e32 v151, v162, v151
	v_fma_f16 v162, v166, s15, -v241
	v_add_f16_e32 v160, v162, v160
	v_pack_b32_f16 v16, v16, v101
	v_pack_b32_f16 v101, v151, v160
	ds_write2_b32 v94, v101, v16 offset0:12 offset1:13
	v_pk_add_f16 v16, v33, v171
	v_fma_f16 v33, v102, s14, -v103
	v_fma_f16 v101, v102, s15, -v181
	v_add_f16_e32 v33, v33, v71
	v_fma_f16 v71, v35, s15, v178
	v_add_f16_e32 v76, v101, v76
	v_fma_f16 v101, v104, s15, -v145
	v_add_f16_e32 v71, v71, v173
	v_add_f16_e32 v33, v101, v33
	v_fma_f16 v101, v30, s17, v188
	v_add_f16_e32 v71, v101, v71
	v_fma_f16 v101, v104, s17, -v189
	v_add_f16_e32 v76, v101, v76
	v_fma_f16 v101, v146, s17, -v148
	v_add_f16_e32 v33, v101, v33
	v_fma_f16 v101, v38, s0, v192
	v_add_f16_e32 v71, v101, v71
	v_fma_f16 v101, v146, s0, -v193
	v_add_f16_e32 v76, v101, v76
	v_fma_f16 v101, v149, s16, -v153
	;; [unrolled: 6-line block ×4, first 2 shown]
	v_add_f16_e32 v33, v101, v33
	v_fma_f16 v101, v40, s14, v204
	v_fma_f16 v102, v166, s18, -v167
	v_pk_add_f16 v16, v144, v16
	v_add_f16_e32 v71, v101, v71
	v_add_f16_e32 v33, v102, v33
	v_fma_f16 v102, v143, s16, v208
	v_pk_add_f16 v16, v147, v16
	v_fma_f16 v101, v157, s14, -v205
	v_add_f16_e32 v71, v102, v71
	v_pk_mul_f16 v102, v159, s36
	v_pk_add_f16 v16, v150, v16
	v_pack_b32_f16 v101, v101, v161
	v_bfi_b32 v76, s29, v76, v102
	v_pk_add_f16 v16, v155, v16
	v_pk_add_f16 v76, v101, v76
	v_mul_f16_e32 v101, 0xb836, v159
	v_bfi_b32 v101, s29, v101, v16
	v_pk_add_f16 v101, v209, v101 neg_lo:[0,1] neg_hi:[0,1]
	v_pk_add_f16 v16, v152, v16
	v_bfi_b32 v16, s29, v101, v16
	v_pk_add_f16 v16, v16, v76
	v_alignbit_b32 v33, v33, v16, 16
	v_pack_b32_f16 v16, v71, v16
	ds_write2_b32 v94, v16, v33 offset0:14 offset1:15
	v_lshrrev_b32_e32 v172, 16, v50
	v_mul_f16_e32 v16, 0xb964, v69
	v_fma_f16 v33, v172, s12, -v16
	v_lshrrev_b32_e32 v171, 16, v51
	v_mul_f16_e32 v144, 0xbbf7, v95
	v_add_f16_sdwa v33, v33, v0 dst_sel:DWORD dst_unused:UNUSED_PAD src0_sel:DWORD src1_sel:WORD_1
	v_fma_f16 v71, v171, s14, -v144
	v_mul_f16_e32 v145, 0xbb29, v69
	v_add_f16_e32 v33, v71, v33
	v_fma_f16 v71, v172, s13, -v145
	v_mul_f16_e32 v146, 0xba62, v95
	v_add_f16_sdwa v71, v71, v0 dst_sel:DWORD dst_unused:UNUSED_PAD src0_sel:DWORD src1_sel:WORD_1
	v_fma_f16 v76, v171, s15, -v146
	v_mul_f16_e32 v147, 0xbbf7, v69
	v_add_f16_e32 v71, v76, v71
	v_fma_f16 v76, v172, s14, -v147
	;; [unrolled: 6-line block ×4, first 2 shown]
	v_mul_f16_e32 v157, 0x3bb2, v95
	v_add_f16_sdwa v102, v102, v0 dst_sel:DWORD dst_unused:UNUSED_PAD src0_sel:DWORD src1_sel:WORD_1
	v_fma_f16 v103, v171, s0, -v157
	v_add_f16_e32 v102, v103, v102
	v_mul_f16_sdwa v103, v69, s26 dst_sel:DWORD dst_unused:UNUSED_PAD src0_sel:WORD_1 src1_sel:DWORD
	v_fma_f16 v104, v50, s16, -v103
	v_mul_f16_sdwa v149, v95, s28 dst_sel:DWORD dst_unused:UNUSED_PAD src0_sel:WORD_1 src1_sel:DWORD
	v_add_f16_e32 v104, v104, v0
	v_fma_f16 v150, v51, s13, -v149
	v_fma_f16 v103, v50, s16, v103
	v_add_f16_e32 v104, v150, v104
	v_mul_f16_e32 v150, 0xb836, v69
	v_fma_f16 v149, v51, s13, v149
	v_add_f16_e32 v103, v103, v0
	v_mul_f16_e32 v154, 0x3b29, v95
	v_add_f16_e32 v103, v149, v103
	v_fma_f16 v149, v172, s16, -v150
	s_mov_b32 s24, 0xb1e1b5c8
	v_fma_f16 v153, v172, s16, v150
	v_fma_f16 v150, v171, s13, -v154
	v_add_f16_sdwa v149, v149, v0 dst_sel:DWORD dst_unused:UNUSED_PAD src0_sel:DWORD src1_sel:WORD_1
	s_mov_b32 s22, 0x3b76bbdd
	v_pk_mul_f16 v162, v69, s24
	s_mov_b32 s25, 0x35c8b964
	v_add_f16_e32 v149, v150, v149
	v_pk_fma_f16 v150, v50, s22, v162 op_sel:[0,0,1] op_sel_hi:[1,1,0] neg_lo:[0,0,1] neg_hi:[0,0,1]
	s_mov_b32 s24, 0x39e93b76
	v_pk_mul_f16 v166, v95, s25
	v_mul_f16_e32 v173, 0xb1e1, v69
	v_fma_f16 v155, v171, s13, v154
	v_pk_add_f16 v150, v150, v0
	v_pk_fma_f16 v154, v51, s24, v166 op_sel:[0,0,1] op_sel_hi:[1,1,0] neg_lo:[0,0,1] neg_hi:[0,0,1]
	v_mul_f16_e32 v95, 0x35c8, v95
	v_fma_f16 v69, v172, s17, -v173
	v_pk_add_f16 v154, v154, v150
	v_add_f16_sdwa v69, v69, v0 dst_sel:DWORD dst_unused:UNUSED_PAD src0_sel:DWORD src1_sel:WORD_1
	v_fma_f16 v150, v171, s18, -v95
	v_add_f16_e32 v158, v150, v69
	v_lshrrev_b32_e32 v187, 16, v52
	v_mul_f16_e32 v69, 0xba62, v96
	v_fma_f16 v150, v187, s15, -v69
	v_add_f16_sdwa v153, v153, v0 dst_sel:DWORD dst_unused:UNUSED_PAD src0_sel:DWORD src1_sel:WORD_1
	v_add_f16_e32 v33, v150, v33
	v_mul_f16_e32 v150, 0x31e1, v96
	v_add_f16_e32 v153, v155, v153
	v_fma_f16 v155, v187, s17, -v150
	v_add_f16_e32 v71, v155, v71
	v_mul_f16_e32 v155, 0x3bb2, v96
	v_fma_f16 v159, v187, s0, -v155
	v_mul_f16_e32 v161, 0x3964, v96
	v_add_f16_e32 v76, v159, v76
	v_fma_f16 v159, v187, s12, -v161
	v_mul_f16_e32 v170, 0xb5c8, v96
	v_add_f16_e32 v101, v159, v101
	v_fma_f16 v159, v187, s18, -v170
	v_add_f16_e32 v102, v159, v102
	v_mul_f16_sdwa v159, v96, s21 dst_sel:DWORD dst_unused:UNUSED_PAD src0_sel:WORD_1 src1_sel:DWORD
	v_fma_f16 v160, v52, s14, -v159
	v_add_f16_e32 v104, v160, v104
	v_mul_f16_e32 v160, 0xbbf7, v96
	v_fma_f16 v159, v52, s14, v159
	s_mov_b32 s25, 0xb836bb29
	v_add_f16_e32 v103, v159, v103
	v_fma_f16 v159, v187, s14, -v160
	s_mov_b32 s21, 0x3722bacd
	v_pk_mul_f16 v176, v96, s25
	v_fma_f16 v163, v187, s14, v160
	v_add_f16_e32 v159, v159, v149
	v_pk_fma_f16 v149, v52, s21, v176 op_sel:[0,0,1] op_sel_hi:[1,1,0] neg_lo:[0,0,1] neg_hi:[0,0,1]
	v_add_f16_e32 v153, v163, v153
	v_pk_add_f16 v163, v149, v154
	v_lshrrev_b32_e32 v192, 16, v56
	v_mul_f16_e32 v149, 0xb1e1, v97
	v_mul_f16_e32 v182, 0xb836, v96
	v_fma_f16 v154, v192, s17, -v149
	v_fma_f16 v96, v187, s16, -v182
	v_add_f16_e32 v33, v154, v33
	v_mul_f16_e32 v154, 0x3bb2, v97
	v_add_f16_e32 v96, v96, v158
	v_fma_f16 v158, v192, s0, -v154
	v_mul_f16_e32 v160, 0x35c8, v97
	v_add_f16_e32 v71, v158, v71
	v_fma_f16 v158, v192, s18, -v160
	;; [unrolled: 3-line block ×4, first 2 shown]
	v_add_f16_e32 v102, v158, v102
	v_mul_f16_sdwa v158, v97, s27 dst_sel:DWORD dst_unused:UNUSED_PAD src0_sel:WORD_1 src1_sel:DWORD
	v_fma_f16 v167, v56, s15, -v158
	v_add_f16_e32 v104, v167, v104
	v_mul_f16_e32 v167, 0x3a62, v97
	v_fma_f16 v168, v192, s15, v167
	v_add_f16_e32 v174, v168, v153
	v_fma_f16 v153, v56, s15, v158
	s_mov_b32 s26, 0x3964bbf7
	v_add_f16_e32 v103, v153, v103
	v_fma_f16 v153, v192, s15, -v167
	s_mov_b32 s25, 0x2de839e9
	v_pk_mul_f16 v189, v97, s26
	v_add_f16_e32 v158, v153, v159
	v_pk_fma_f16 v153, v56, s25, v189 op_sel:[0,0,1] op_sel_hi:[1,1,0] neg_lo:[0,0,1] neg_hi:[0,0,1]
	v_mul_f16_e32 v183, 0x3964, v97
	v_pk_add_f16 v163, v153, v163
	v_fma_f16 v97, v192, s12, -v183
	v_lshrrev_b32_e32 v197, 16, v64
	v_mul_f16_e32 v153, 0x3836, v98
	v_add_f16_e32 v96, v97, v96
	v_fma_f16 v97, v197, s16, -v153
	v_mul_f16_e32 v159, 0x3964, v98
	v_add_f16_e32 v33, v97, v33
	v_fma_f16 v97, v197, s12, -v159
	;; [unrolled: 3-line block ×5, first 2 shown]
	v_add_f16_e32 v101, v101, v102
	v_mul_f16_sdwa v102, v98, s19 dst_sel:DWORD dst_unused:UNUSED_PAD src0_sel:WORD_1 src1_sel:DWORD
	v_fma_f16 v167, v64, s18, -v102
	v_add_f16_e32 v104, v167, v104
	v_mul_f16_e32 v167, 0xb5c8, v98
	v_fma_f16 v102, v64, s18, v102
	s_mov_b32 s26, 0xba62bbb2
	v_add_f16_e32 v102, v102, v103
	v_fma_f16 v103, v197, s18, -v167
	s_mov_b32 s19, 0xb461b8d2
	v_pk_mul_f16 v194, v98, s26
	v_add_f16_e32 v103, v103, v158
	v_pk_fma_f16 v158, v64, s19, v194 op_sel:[0,0,1] op_sel_hi:[1,1,0] neg_lo:[0,0,1] neg_hi:[0,0,1]
	v_mul_f16_e32 v184, 0xba62, v98
	v_pk_add_f16 v163, v158, v163
	v_fma_f16 v98, v197, s15, -v184
	v_lshrrev_b32_e32 v200, 16, v113
	v_mul_f16_e32 v158, 0x3bb2, v100
	v_fma_f16 v175, v197, s18, v167
	v_add_f16_e32 v96, v98, v96
	v_fma_f16 v98, v200, s0, -v158
	v_mul_f16_e32 v167, 0xb5c8, v100
	v_add_f16_e32 v33, v98, v33
	v_fma_f16 v98, v200, s18, -v167
	v_mul_f16_e32 v177, 0xb836, v100
	;; [unrolled: 3-line block ×4, first 2 shown]
	v_add_f16_e32 v97, v98, v97
	v_fma_f16 v98, v200, s12, -v196
	v_add_f16_e32 v98, v98, v101
	v_mul_f16_sdwa v101, v100, s20 dst_sel:DWORD dst_unused:UNUSED_PAD src0_sel:WORD_1 src1_sel:DWORD
	v_add_f16_e32 v174, v175, v174
	v_fma_f16 v175, v113, s17, -v101
	v_add_f16_e32 v104, v175, v104
	v_mul_f16_e32 v175, 0xb1e1, v100
	v_fma_f16 v101, v113, s17, v101
	s_mov_b32 s26, 0x3b29ba62
	v_add_f16_e32 v101, v101, v102
	v_fma_f16 v102, v200, s17, -v175
	s_mov_b32 s20, 0xb8d23722
	v_pk_mul_f16 v198, v100, s26
	v_add_f16_e32 v102, v102, v103
	v_pk_fma_f16 v103, v113, s20, v198 op_sel:[0,0,1] op_sel_hi:[1,1,0] neg_lo:[0,0,1] neg_hi:[0,0,1]
	v_mul_f16_e32 v185, 0x3b29, v100
	v_pk_add_f16 v103, v103, v163
	v_fma_f16 v100, v200, s13, -v185
	v_lshrrev_b32_e32 v202, 16, v118
	v_mul_f16_e32 v163, 0x3b29, v99
	v_fma_f16 v178, v200, s17, v175
	v_add_f16_e32 v96, v100, v96
	v_fma_f16 v100, v202, s13, -v163
	v_mul_f16_e32 v175, 0xbbf7, v99
	v_add_f16_e32 v33, v100, v33
	v_fma_f16 v100, v202, s14, -v175
	v_mul_f16_e32 v188, 0x3a62, v99
	;; [unrolled: 3-line block ×4, first 2 shown]
	v_add_f16_e32 v100, v100, v97
	v_fma_f16 v97, v202, s17, -v201
	v_add_f16_e32 v174, v178, v174
	v_add_f16_e32 v178, v97, v98
	v_mul_f16_sdwa v97, v99, s23 dst_sel:DWORD dst_unused:UNUSED_PAD src0_sel:WORD_1 src1_sel:DWORD
	v_fma_f16 v98, v118, s12, -v97
	v_add_f16_e32 v207, v98, v104
	v_mul_f16_e32 v98, 0x3964, v99
	v_fma_f16 v97, v118, s12, v97
	s_mov_b32 s26, 0xbbb2b836
	v_add_f16_e32 v208, v97, v101
	v_fma_f16 v97, v202, s12, -v98
	s_mov_b32 s23, 0xbacdb461
	v_pk_mul_f16 v203, v99, s26
	v_fma_f16 v104, v202, s12, v98
	v_add_f16_e32 v101, v97, v102
	v_pk_fma_f16 v97, v118, s23, v203 op_sel:[0,0,1] op_sel_hi:[1,1,0] neg_lo:[0,0,1] neg_hi:[0,0,1]
	v_mul_f16_e32 v209, 0xbbb2, v99
	v_add_f16_e32 v104, v104, v174
	v_pk_add_f16 v103, v97, v103
	v_fma_f16 v97, v202, s0, -v209
	v_lshrrev_b32_e32 v205, 16, v119
	v_mul_f16_e32 v174, 0x35c8, v136
	v_add_f16_e32 v210, v97, v96
	v_fma_f16 v96, v205, s18, -v174
	v_mul_f16_e32 v186, 0xb836, v136
	v_add_f16_e32 v96, v96, v33
	v_fma_f16 v33, v205, s16, -v186
	v_mul_f16_e32 v193, 0x3964, v136
	v_add_f16_e32 v97, v33, v71
	v_fma_f16 v33, v205, s12, -v193
	v_mul_f16_e32 v199, 0xba62, v136
	v_add_f16_e32 v98, v33, v76
	v_fma_f16 v33, v205, s15, -v199
	v_mul_f16_e32 v204, 0x3b29, v136
	v_add_f16_e32 v99, v33, v100
	v_fma_f16 v33, v205, s13, -v204
	v_add_f16_e32 v102, v33, v178
	v_mul_f16_e32 v33, 0xbbb2, v136
	v_fma_f16 v71, v205, s0, v33
	s_mov_b32 s18, 0x3bf7b1e1
	v_add_f16_e32 v93, v71, v104
	v_pk_mul_f16 v206, v136, s18
	v_pk_fma_f16 v71, v50, s22, v162 op_sel:[0,0,1] op_sel_hi:[1,1,0]
	s_mov_b32 s18, 0x5040100
	v_mul_f16_e32 v76, 0x3b76, v171
	v_pack_b32_f16 v71, v95, v71
	v_perm_b32 v76, v0, v76, s18
	v_fma_f16 v17, v35, s12, v17
	v_pk_add_f16 v71, v71, v76
	v_fma_f16 v76, v172, s17, v173
	v_pk_mul_f16 v178, v51, s24
	s_mov_b32 s24, 0x7060302
	v_add_f16_e32 v17, v17, v164
	v_fma_f16 v30, v30, s13, v36
	v_pack_b32_f16 v76, v76, v178
	v_perm_b32 v95, v166, v0, s24
	v_add_f16_e32 v17, v30, v17
	v_fma_f16 v30, v38, s14, v39
	v_pk_add_f16 v76, v76, v95
	v_pk_mul_f16 v180, v52, s21
	v_mul_f16_e32 v95, 0xbacd, v187
	v_add_f16_e32 v17, v30, v17
	v_fma_f16 v30, v34, s0, v138
	v_pk_add_f16 v71, v76, v71
	v_pack_b32_f16 v76, v182, v180
	v_bfi_b32 v95, s29, v95, v176
	v_add_f16_e32 v17, v30, v17
	v_fma_f16 v30, v137, s15, v140
	v_pk_add_f16 v76, v76, v95
	v_pk_mul_f16 v182, v56, s25
	v_mul_f16_e32 v95, 0x39e9, v192
	v_add_f16_e32 v17, v30, v17
	v_fma_f16 v30, v40, s16, v141
	v_pk_add_f16 v71, v76, v71
	v_pack_b32_f16 v76, v183, v182
	v_bfi_b32 v95, s29, v95, v189
	v_add_f16_e32 v17, v30, v17
	v_fma_f16 v18, v143, s17, v18
	v_pk_add_f16 v76, v76, v95
	v_pk_mul_f16 v183, v64, s19
	v_mul_f16_e32 v95, 0xb8d2, v197
	v_add_f16_e32 v17, v18, v17
	v_add_f16_e32 v18, v31, v165
	v_pk_add_f16 v71, v76, v71
	v_pack_b32_f16 v76, v184, v183
	v_bfi_b32 v95, s29, v95, v194
	v_add_f16_e32 v18, v32, v18
	v_pk_add_f16 v76, v76, v95
	v_pk_mul_f16 v184, v113, s20
	v_mul_f16_e32 v95, 0x3722, v200
	v_add_f16_e32 v18, v37, v18
	v_pk_add_f16 v71, v76, v71
	v_pack_b32_f16 v76, v185, v184
	v_bfi_b32 v95, s29, v95, v198
	v_add_f16_e32 v18, v41, v18
	v_pk_add_f16 v76, v76, v95
	v_pk_mul_f16 v185, v118, s23
	v_mul_f16_e32 v95, 0xb461, v202
	v_add_f16_e32 v18, v139, v18
	v_pk_add_f16 v71, v76, v71
	v_pack_b32_f16 v76, v209, v185
	v_bfi_b32 v95, s29, v95, v203
	v_add_f16_e32 v18, v142, v18
	v_fma_f16 v33, v205, s0, -v33
	s_mov_b32 s26, 0xbbdd2de8
	v_pk_add_f16 v76, v76, v95
	v_add_f16_e32 v18, v19, v18
	v_add_f16_e32 v100, v33, v101
	v_pk_fma_f16 v33, v119, s26, v206 op_sel:[0,0,1] op_sel_hi:[1,1,0] neg_lo:[0,0,1] neg_hi:[0,0,1]
	v_pk_add_f16 v71, v76, v71
	v_mul_f16_e32 v76, 0x2de8, v205
	v_pk_mul_f16 v173, v119, s26
	v_mul_f16_e32 v95, 0x3bf7, v136
	v_pack_b32_f16 v17, v17, v18
	v_pk_add_f16 v33, v33, v103
	v_bfi_b32 v76, s29, v76, v206
	v_pack_b32_f16 v103, v95, v173
	ds_write_b32 v94, v17 offset:64
	v_mul_f16_sdwa v17, v136, s1 dst_sel:DWORD dst_unused:UNUSED_PAD src0_sel:WORD_1 src1_sel:DWORD
	v_pk_add_f16 v76, v103, v76
	v_fma_f16 v18, v119, s0, -v17
	v_fma_f16 v17, v119, s0, v17
	v_pk_add_f16 v101, v76, v71
	v_fma_f16 v71, v205, s14, -v95
	v_add_f16_e32 v35, v17, v208
	v_add_co_u32_e64 v17, s[0:1], 17, v90
	v_add_f16_e32 v95, v71, v210
	v_add_f16_e32 v32, v18, v207
	v_mul_u32_u24_e32 v81, 17, v17
	s_and_saveexec_b64 s[0:1], vcc
	s_cbranch_execz .LBB0_7
; %bb.6:
	v_mul_f16_e32 v39, 0xb8d2, v50
	v_mul_f16_e32 v41, 0x39e9, v51
	;; [unrolled: 1-line block ×7, first 2 shown]
	v_sub_f16_e32 v39, v39, v128
	v_mul_f16_e32 v76, 0x2de8, v171
	v_mul_f16_e32 v137, 0xb8d2, v171
	v_mul_f16_e32 v139, 0xbbdd, v171
	v_mul_f16_e32 v141, 0xbacd, v171
	v_mul_f16_e32 v142, 0xb461, v171
	v_mul_f16_e32 v143, 0x3722, v52
	v_mul_f16_e32 v164, 0xb8d2, v52
	v_mul_f16_e32 v171, 0xbbdd, v52
	v_mul_f16_e32 v207, 0xb461, v52
	v_mul_f16_e32 v209, 0x39e9, v52
	v_mul_f16_e32 v52, 0x3b76, v52
	v_add_f16_e32 v39, v39, v0
	v_sub_f16_e32 v51, v51, v129
	v_mul_f16_e32 v211, 0x2de8, v56
	v_mul_f16_e32 v212, 0xbbdd, v56
	v_mul_f16_e32 v214, 0xb461, v56
	v_mul_f16_e32 v216, 0x3b76, v56
	v_mul_f16_e32 v218, 0x3722, v56
	v_mul_f16_e32 v56, 0xbacd, v56
	v_add_f16_e32 v39, v51, v39
	v_sub_f16_e32 v51, v52, v130
	v_mul_f16_e32 v220, 0xb461, v64
	v_mul_f16_e32 v221, 0xbacd, v64
	v_mul_f16_e32 v223, 0x39e9, v64
	v_mul_f16_e32 v225, 0x3722, v64
	v_mul_f16_e32 v227, 0xbbdd, v64
	v_mul_f16_e32 v64, 0x2de8, v64
	;; [unrolled: 8-line block ×5, first 2 shown]
	v_mul_f16_e32 v119, 0x3722, v119
	v_add_f16_e32 v39, v51, v39
	v_sub_f16_e32 v51, v118, v134
	v_add_f16_e32 v39, v51, v39
	v_sub_f16_e32 v51, v119, v135
	v_add_f16_e32 v38, v151, v38
	v_mul_f16_e32 v210, 0x39e9, v187
	v_add_f16_e32 v39, v51, v39
	v_add_f16_sdwa v38, v38, v0 dst_sel:DWORD dst_unused:UNUSED_PAD src0_sel:DWORD src1_sel:WORD_1
	v_add_f16_e32 v51, v152, v141
	v_mul_f16_e32 v219, 0x3722, v192
	v_add_f16_e32 v38, v51, v38
	v_add_f16_e32 v51, v161, v210
	v_mul_f16_e32 v228, 0xbbdd, v197
	v_add_f16_e32 v38, v51, v38
	;; [unrolled: 3-line block ×4, first 2 shown]
	v_add_f16_e32 v51, v190, v237
	v_mul_f16_e32 v37, 0xb461, v50
	v_mul_f16_e32 v255, 0xb8d2, v205
	v_add_f16_e32 v38, v51, v38
	v_add_f16_e32 v51, v195, v246
	;; [unrolled: 1-line block ×4, first 2 shown]
	v_sub_f16_e32 v37, v37, v120
	v_add_f16_e32 v38, v51, v38
	v_add_f16_e32 v37, v37, v0
	v_sub_f16_e32 v51, v140, v121
	v_add_f16_e32 v37, v51, v37
	v_sub_f16_e32 v51, v209, v122
	;; [unrolled: 2-line block ×3, first 2 shown]
	v_mul_f16_e32 v19, 0x39e9, v172
	v_add_f16_e32 v37, v51, v37
	v_sub_f16_e32 v51, v227, v124
	v_add_f16_e32 v37, v51, v37
	v_sub_f16_e32 v51, v236, v125
	v_add_f16_e32 v16, v16, v19
	v_mul_f16_e32 v36, 0x2de8, v172
	v_mul_f16_e32 v165, 0xb8d2, v187
	v_add_f16_e32 v37, v51, v37
	v_sub_f16_e32 v51, v245, v126
	v_add_f16_sdwa v16, v16, v0 dst_sel:DWORD dst_unused:UNUSED_PAD src0_sel:DWORD src1_sel:WORD_1
	v_add_f16_e32 v19, v144, v76
	v_mul_f16_e32 v213, 0xbbdd, v192
	v_add_f16_e32 v37, v51, v37
	v_sub_f16_e32 v51, v254, v127
	v_add_f16_e32 v36, v147, v36
	v_add_f16_e32 v16, v19, v16
	;; [unrolled: 1-line block ×3, first 2 shown]
	v_mul_f16_e32 v208, 0xb461, v187
	v_mul_f16_e32 v222, 0xbacd, v197
	v_add_f16_e32 v37, v51, v37
	v_add_f16_sdwa v36, v36, v0 dst_sel:DWORD dst_unused:UNUSED_PAD src0_sel:DWORD src1_sel:WORD_1
	v_add_f16_e32 v51, v148, v139
	v_add_f16_e32 v16, v19, v16
	;; [unrolled: 1-line block ×3, first 2 shown]
	v_mul_f16_e32 v217, 0x3b76, v192
	v_mul_f16_e32 v231, 0xb461, v200
	v_add_f16_e32 v36, v51, v36
	v_add_f16_e32 v51, v155, v208
	;; [unrolled: 1-line block ×4, first 2 shown]
	v_mul_f16_e32 v226, 0x3722, v197
	v_mul_f16_e32 v240, 0x3722, v202
	v_add_f16_e32 v36, v51, v36
	v_add_f16_e32 v51, v160, v217
	;; [unrolled: 1-line block ×4, first 2 shown]
	v_mul_f16_e32 v18, 0x39e9, v50
	v_mul_f16_e32 v235, 0xbacd, v200
	;; [unrolled: 1-line block ×3, first 2 shown]
	v_add_f16_e32 v36, v51, v36
	v_add_f16_e32 v51, v168, v226
	;; [unrolled: 1-line block ×4, first 2 shown]
	v_mul_f16_e32 v244, 0xb8d2, v202
	v_add_f16_e32 v36, v51, v36
	v_add_f16_e32 v51, v177, v235
	;; [unrolled: 1-line block ×4, first 2 shown]
	v_sub_f16_e32 v18, v18, v43
	v_mul_f16_e32 v34, 0x2de8, v50
	v_mul_f16_e32 v253, 0x39e9, v205
	v_add_f16_e32 v36, v51, v36
	v_add_f16_e32 v51, v188, v244
	;; [unrolled: 1-line block ×4, first 2 shown]
	v_sub_f16_e32 v19, v71, v45
	v_add_f16_e32 v36, v51, v36
	v_add_f16_e32 v51, v193, v253
	v_sub_f16_e32 v34, v34, v109
	v_add_f16_e32 v18, v19, v18
	v_sub_f16_e32 v19, v164, v47
	v_add_f16_e32 v36, v51, v36
	v_add_f16_e32 v34, v34, v0
	v_sub_f16_e32 v51, v138, v110
	v_add_f16_e32 v18, v19, v18
	v_sub_f16_e32 v19, v212, v49
	;; [unrolled: 2-line block ×8, first 2 shown]
	v_mul_f16_e32 v17, 0x3b76, v50
	v_mul_f16_e32 v30, 0x3722, v50
	v_pk_mul_f16 v50, v50, s22
	v_add_f16_e32 v34, v51, v34
	v_sub_f16_e32 v51, v234, v115
	v_add_f16_e32 v18, v19, v18
	v_sub_f16_e32 v19, v248, v63
	v_mul_f16_e32 v31, 0x3722, v172
	v_alignbit_b32 v162, v162, v162, 16
	v_add_f16_e32 v34, v51, v34
	v_sub_f16_e32 v51, v243, v116
	v_add_f16_e32 v18, v19, v18
	v_bfi_b32 v19, s29, v42, v50
	v_add_f16_e32 v34, v51, v34
	v_sub_f16_e32 v51, v252, v117
	v_add_f16_e32 v31, v145, v31
	v_pk_add_f16 v17, v17, v19 neg_lo:[0,1] neg_hi:[0,1]
	v_pk_add_f16 v19, v162, v50
	v_pk_add_f16 v1, v1, v0
	v_mul_f16_e32 v40, 0xb8d2, v172
	v_mul_f16_e32 v172, 0xbbdd, v187
	v_alignbit_b32 v166, v166, v166, 16
	v_add_f16_e32 v34, v51, v34
	v_add_f16_sdwa v31, v31, v0 dst_sel:DWORD dst_unused:UNUSED_PAD src0_sel:DWORD src1_sel:WORD_1
	v_add_f16_e32 v51, v146, v137
	v_bfi_b32 v17, s29, v17, v19
	v_bfi_b32 v19, s29, v44, v178
	v_pk_add_f16 v1, v10, v1
	v_mul_f16_e32 v215, 0xb461, v192
	v_add_f16_e32 v31, v51, v31
	v_add_f16_e32 v51, v150, v172
	v_pk_add_f16 v19, v41, v19 neg_lo:[0,1] neg_hi:[0,1]
	v_pk_add_f16 v41, v166, v178
	v_pk_add_f16 v1, v11, v1
	v_mul_f16_e32 v224, 0x39e9, v197
	v_alignbit_b32 v176, v176, v176, 16
	v_add_f16_e32 v31, v51, v31
	v_add_f16_e32 v51, v154, v215
	v_bfi_b32 v19, s29, v19, v41
	v_bfi_b32 v41, s29, v46, v180
	v_pk_add_f16 v1, v8, v1
	v_mul_f16_e32 v233, 0x3b76, v200
	v_add_f16_e32 v31, v51, v31
	v_add_f16_e32 v51, v159, v224
	v_pk_add_f16 v41, v143, v41 neg_lo:[0,1] neg_hi:[0,1]
	v_pk_add_f16 v42, v176, v180
	v_pk_add_f16 v1, v9, v1
	v_mul_f16_e32 v242, 0x2de8, v202
	v_alignbit_b32 v189, v189, v189, 16
	v_add_f16_e32 v31, v51, v31
	v_add_f16_e32 v51, v167, v233
	v_bfi_b32 v41, s29, v41, v42
	v_bfi_b32 v42, s29, v48, v182
	v_pk_add_f16 v1, v4, v1
	v_mul_f16_e32 v251, 0xbacd, v205
	v_add_f16_e32 v31, v51, v31
	v_add_f16_e32 v51, v175, v242
	v_pk_add_f16 v42, v211, v42 neg_lo:[0,1] neg_hi:[0,1]
	v_pk_add_f16 v43, v189, v182
	v_pk_add_f16 v1, v5, v1
	v_alignbit_b32 v194, v194, v194, 16
	v_add_f16_e32 v40, v156, v40
	v_add_f16_e32 v31, v51, v31
	;; [unrolled: 1-line block ×3, first 2 shown]
	v_sub_f16_e32 v30, v30, v65
	v_bfi_b32 v42, s29, v42, v43
	v_bfi_b32 v43, s29, v53, v183
	v_pk_add_f16 v1, v2, v1
	v_add_f16_sdwa v40, v40, v0 dst_sel:DWORD dst_unused:UNUSED_PAD src0_sel:DWORD src1_sel:WORD_1
	v_add_f16_e32 v31, v51, v31
	v_add_f16_e32 v30, v30, v0
	v_sub_f16_e32 v51, v136, v66
	v_pk_add_f16 v43, v220, v43 neg_lo:[0,1] neg_hi:[0,1]
	v_pk_add_f16 v44, v194, v183
	v_pk_add_f16 v1, v3, v1
	;; [unrolled: 1-line block ×3, first 2 shown]
	v_alignbit_b32 v198, v198, v198, 16
	v_add_f16_e32 v30, v51, v30
	v_sub_f16_e32 v51, v171, v67
	v_bfi_b32 v43, s29, v43, v44
	v_bfi_b32 v44, s29, v57, v184
	v_pk_add_f16 v1, v6, v1
	v_pk_add_f16 v0, v19, v0
	v_mul_f16_e32 v187, 0x3b76, v187
	v_add_f16_e32 v142, v157, v142
	v_add_f16_e32 v30, v51, v30
	v_sub_f16_e32 v51, v214, v68
	v_pk_add_f16 v44, v229, v44 neg_lo:[0,1] neg_hi:[0,1]
	v_pk_add_f16 v45, v198, v184
	v_pk_add_f16 v1, v7, v1
	;; [unrolled: 1-line block ×3, first 2 shown]
	v_mul_f16_e32 v192, 0xbacd, v192
	v_alignbit_b32 v203, v203, v203, 16
	v_add_f16_e32 v40, v142, v40
	v_add_f16_e32 v142, v170, v187
	;; [unrolled: 1-line block ×3, first 2 shown]
	v_sub_f16_e32 v51, v223, v105
	v_bfi_b32 v44, s29, v44, v45
	v_bfi_b32 v45, s29, v59, v185
	v_pk_add_f16 v1, v12, v1
	v_pk_add_f16 v0, v42, v0
	v_mul_f16_e32 v197, 0x2de8, v197
	v_alignbit_b32 v206, v206, v206, 16
	v_add_f16_e32 v40, v142, v40
	v_add_f16_e32 v142, v181, v192
	;; [unrolled: 1-line block ×3, first 2 shown]
	v_sub_f16_e32 v51, v232, v106
	v_pk_add_f16 v45, v238, v45 neg_lo:[0,1] neg_hi:[0,1]
	v_pk_add_f16 v46, v203, v185
	v_pk_add_f16 v1, v13, v1
	;; [unrolled: 1-line block ×3, first 2 shown]
	v_bfi_b32 v2, s29, v60, v173
	v_mul_f16_e32 v200, 0x39e9, v200
	v_add_f16_e32 v40, v142, v40
	v_add_f16_e32 v142, v191, v197
	v_add_f16_e32 v30, v51, v30
	v_sub_f16_e32 v51, v241, v107
	v_bfi_b32 v45, s29, v45, v46
	v_pk_add_f16 v1, v14, v1
	v_pk_add_f16 v0, v44, v0
	v_pk_add_f16 v2, v247, v2 neg_lo:[0,1] neg_hi:[0,1]
	v_pk_add_f16 v3, v206, v173
	v_mul_f16_e32 v202, 0xbbdd, v202
	v_add_f16_e32 v40, v142, v40
	v_add_f16_e32 v142, v196, v200
	;; [unrolled: 1-line block ×3, first 2 shown]
	v_sub_f16_e32 v51, v250, v108
	v_pk_add_f16 v1, v15, v1
	v_pk_add_f16 v0, v45, v0
	v_bfi_b32 v2, s29, v2, v3
	v_mul_f16_e32 v205, 0x3722, v205
	v_add_f16_e32 v40, v142, v40
	v_add_f16_e32 v142, v201, v202
	;; [unrolled: 1-line block ×3, first 2 shown]
	v_lshl_add_u32 v8, v81, 2, v85
	v_pk_add_f16 v1, v20, v1
	v_pk_add_f16 v0, v2, v0
	v_add_f16_e32 v40, v142, v40
	v_add_f16_e32 v142, v204, v205
	ds_write2_b32 v8, v1, v0 offset1:1
	v_pack_b32_f16 v0, v30, v31
	v_pack_b32_f16 v1, v18, v16
	v_add_f16_e32 v40, v142, v40
	ds_write2_b32 v8, v1, v0 offset0:2 offset1:3
	v_pack_b32_f16 v0, v37, v38
	v_pack_b32_f16 v1, v34, v36
	ds_write2_b32 v8, v1, v0 offset0:4 offset1:5
	v_pack_b32_f16 v0, v39, v40
	v_perm_b32 v1, v93, v32, s18
	ds_write2_b32 v8, v0, v1 offset0:6 offset1:7
	v_perm_b32 v0, v101, v33, s18
	v_alignbit_b32 v1, v95, v101, 16
	ds_write2_b32 v8, v0, v1 offset0:8 offset1:9
	v_perm_b32 v0, v102, v28, s18
	v_perm_b32 v1, v100, v35, s18
	ds_write2_b32 v8, v1, v0 offset0:10 offset1:11
	v_perm_b32 v0, v98, v26, s18
	v_perm_b32 v1, v99, v29, s18
	ds_write2_b32 v8, v1, v0 offset0:12 offset1:13
	v_perm_b32 v0, v96, v24, s18
	v_perm_b32 v1, v97, v27, s18
	ds_write2_b32 v8, v1, v0 offset0:14 offset1:15
	v_bfi_b32 v0, s29, v25, v33
	ds_write_b32 v8, v0 offset:64
.LBB0_7:
	s_or_b64 exec, exec, s[0:1]
	v_add_u16_e32 v12, 34, v90
	s_movk_i32 s0, 0xf1
	v_mul_lo_u16_sdwa v13, v12, s0 dst_sel:DWORD dst_unused:UNUSED_PAD src0_sel:BYTE_0 src1_sel:DWORD
	v_lshrrev_b16_e32 v13, 12, v13
	v_mul_lo_u16_e32 v13, 17, v13
	v_sub_u16_e32 v60, v12, v13
	v_add_u16_e32 v13, 51, v90
	v_mul_lo_u16_sdwa v14, v13, s0 dst_sel:DWORD dst_unused:UNUSED_PAD src0_sel:BYTE_0 src1_sel:DWORD
	v_lshrrev_b16_e32 v14, 12, v14
	v_lshlrev_b16_e32 v12, 1, v60
	v_mul_lo_u16_e32 v14, 17, v14
	v_lshlrev_b32_e32 v10, 3, v90
	v_and_b32_e32 v12, 0xfe, v12
	v_sub_u16_e32 v61, v13, v14
	v_add_u16_e32 v13, 0x44, v90
	s_waitcnt lgkmcnt(0)
	; wave barrier
	s_waitcnt lgkmcnt(0)
	ds_read2_b32 v[0:1], v70 offset1:17
	ds_read2_b32 v[2:3], v70 offset0:136 offset1:153
	global_load_dwordx2 v[30:31], v10, s[4:5]
	v_lshlrev_b32_e32 v12, 2, v12
	global_load_dwordx2 v[36:37], v12, s[4:5]
	v_mul_lo_u16_sdwa v14, v13, s0 dst_sel:DWORD dst_unused:UNUSED_PAD src0_sel:BYTE_0 src1_sel:DWORD
	v_lshlrev_b16_e32 v12, 1, v61
	v_lshrrev_b16_e32 v14, 12, v14
	v_and_b32_e32 v12, 0xfe, v12
	v_mul_lo_u16_e32 v14, 17, v14
	v_lshlrev_b32_e32 v12, 2, v12
	v_sub_u16_e32 v62, v13, v14
	global_load_dwordx2 v[40:41], v12, s[4:5]
	v_lshlrev_b16_e32 v12, 1, v62
	v_and_b32_e32 v12, 0xfe, v12
	v_lshlrev_b32_e32 v12, 2, v12
	global_load_dwordx2 v[38:39], v12, s[4:5]
	v_add_u16_e32 v12, 0x55, v90
	v_mul_lo_u16_sdwa v13, v12, s0 dst_sel:DWORD dst_unused:UNUSED_PAD src0_sel:BYTE_0 src1_sel:DWORD
	v_lshrrev_b16_e32 v13, 12, v13
	v_mul_lo_u16_e32 v13, 17, v13
	v_sub_u16_e32 v63, v12, v13
	v_lshlrev_b16_e32 v12, 1, v63
	v_and_b32_e32 v12, 0xfe, v12
	v_add_u16_e32 v13, 0x66, v90
	v_lshlrev_b32_e32 v12, 2, v12
	v_mul_lo_u16_sdwa v14, v13, s0 dst_sel:DWORD dst_unused:UNUSED_PAD src0_sel:BYTE_0 src1_sel:DWORD
	global_load_dwordx2 v[42:43], v12, s[4:5]
	v_lshrrev_b16_e32 v12, 12, v14
	v_mul_lo_u16_e32 v12, 17, v12
	v_sub_u16_e32 v64, v13, v12
	v_lshlrev_b16_e32 v12, 1, v64
	v_and_b32_e32 v12, 0xfe, v12
	v_lshlrev_b32_e32 v12, 2, v12
	v_add_u16_e32 v13, 0x77, v90
	global_load_dwordx2 v[44:45], v12, s[4:5]
	v_mul_lo_u16_sdwa v12, v13, s0 dst_sel:DWORD dst_unused:UNUSED_PAD src0_sel:BYTE_0 src1_sel:DWORD
	v_lshrrev_b16_e32 v12, 12, v12
	v_mul_lo_u16_e32 v12, 17, v12
	v_sub_u16_e32 v65, v13, v12
	v_lshlrev_b16_e32 v12, 1, v65
	v_and_b32_e32 v12, 0xfe, v12
	v_lshlrev_b32_e32 v12, 2, v12
	global_load_dwordx2 v[46:47], v12, s[4:5]
	v_add_u32_e32 v34, 0x400, v70
	ds_read2_b32 v[4:5], v34 offset0:16 offset1:33
	s_waitcnt lgkmcnt(1)
	v_lshrrev_b32_e32 v52, 16, v2
	ds_read2_b32 v[8:9], v70 offset0:170 offset1:187
	v_lshrrev_b32_e32 v57, 16, v3
	ds_read2_b32 v[10:11], v34 offset0:50 offset1:67
	s_waitcnt lgkmcnt(2)
	v_lshrrev_b32_e32 v53, 16, v4
	v_lshrrev_b32_e32 v58, 16, v5
	s_waitcnt lgkmcnt(1)
	v_lshrrev_b32_e32 v66, 16, v8
	ds_read2_b32 v[6:7], v70 offset0:34 offset1:51
	s_waitcnt lgkmcnt(1)
	v_lshrrev_b32_e32 v67, 16, v10
	ds_read2_b32 v[12:13], v70 offset0:68 offset1:85
	ds_read2_b32 v[14:15], v70 offset0:204 offset1:221
	;; [unrolled: 1-line block ×3, first 2 shown]
	v_lshrrev_b32_e32 v69, 16, v9
	v_lshrrev_b32_e32 v71, 16, v11
	ds_read2_b32 v[18:19], v70 offset0:102 offset1:119
	ds_read2_b32 v[48:49], v70 offset0:238 offset1:255
	;; [unrolled: 1-line block ×3, first 2 shown]
	s_waitcnt lgkmcnt(4)
	v_lshrrev_b32_e32 v105, 16, v14
	s_waitcnt lgkmcnt(3)
	v_lshrrev_b32_e32 v106, 16, v16
	v_lshrrev_b32_e32 v108, 16, v15
	;; [unrolled: 1-line block ×3, first 2 shown]
	s_waitcnt lgkmcnt(1)
	v_lshrrev_b32_e32 v111, 16, v48
	s_waitcnt lgkmcnt(0)
	v_lshrrev_b32_e32 v112, 16, v50
	v_lshrrev_b32_e32 v114, 16, v49
	;; [unrolled: 1-line block ×4, first 2 shown]
	s_movk_i32 s0, 0x3aee
	s_mov_b32 s1, 0xbaee
	v_lshrrev_b32_e32 v56, 16, v1
	v_lshrrev_b32_e32 v59, 16, v6
	v_lshrrev_b32_e32 v68, 16, v7
	v_lshrrev_b32_e32 v76, 16, v12
	v_lshrrev_b32_e32 v107, 16, v13
	v_lshrrev_b32_e32 v110, 16, v18
	v_lshrrev_b32_e32 v113, 16, v19
	s_waitcnt lgkmcnt(0)
	; wave barrier
	s_waitcnt vmcnt(6)
	v_mul_f16_sdwa v116, v52, v30 dst_sel:DWORD dst_unused:UNUSED_PAD src0_sel:DWORD src1_sel:WORD_1
	v_fma_f16 v116, v2, v30, -v116
	v_mul_f16_sdwa v2, v2, v30 dst_sel:DWORD dst_unused:UNUSED_PAD src0_sel:DWORD src1_sel:WORD_1
	v_fma_f16 v2, v52, v30, v2
	v_mul_f16_sdwa v52, v53, v31 dst_sel:DWORD dst_unused:UNUSED_PAD src0_sel:DWORD src1_sel:WORD_1
	v_fma_f16 v52, v4, v31, -v52
	v_mul_f16_sdwa v4, v4, v31 dst_sel:DWORD dst_unused:UNUSED_PAD src0_sel:DWORD src1_sel:WORD_1
	v_fma_f16 v4, v53, v31, v4
	;; [unrolled: 4-line block ×4, first 2 shown]
	s_waitcnt vmcnt(5)
	v_mul_f16_sdwa v58, v66, v36 dst_sel:DWORD dst_unused:UNUSED_PAD src0_sel:DWORD src1_sel:WORD_1
	v_fma_f16 v58, v8, v36, -v58
	v_mul_f16_sdwa v8, v8, v36 dst_sel:DWORD dst_unused:UNUSED_PAD src0_sel:DWORD src1_sel:WORD_1
	v_fma_f16 v8, v66, v36, v8
	v_mul_f16_sdwa v66, v67, v37 dst_sel:DWORD dst_unused:UNUSED_PAD src0_sel:DWORD src1_sel:WORD_1
	v_fma_f16 v66, v10, v37, -v66
	v_mul_f16_sdwa v10, v10, v37 dst_sel:DWORD dst_unused:UNUSED_PAD src0_sel:DWORD src1_sel:WORD_1
	v_fma_f16 v10, v67, v37, v10
	s_waitcnt vmcnt(4)
	v_mul_f16_sdwa v67, v69, v40 dst_sel:DWORD dst_unused:UNUSED_PAD src0_sel:DWORD src1_sel:WORD_1
	v_fma_f16 v67, v9, v40, -v67
	v_mul_f16_sdwa v9, v9, v40 dst_sel:DWORD dst_unused:UNUSED_PAD src0_sel:DWORD src1_sel:WORD_1
	v_fma_f16 v9, v69, v40, v9
	v_mul_f16_sdwa v69, v71, v41 dst_sel:DWORD dst_unused:UNUSED_PAD src0_sel:DWORD src1_sel:WORD_1
	v_fma_f16 v69, v11, v41, -v69
	v_mul_f16_sdwa v11, v11, v41 dst_sel:DWORD dst_unused:UNUSED_PAD src0_sel:DWORD src1_sel:WORD_1
	v_fma_f16 v11, v71, v41, v11
	;; [unrolled: 9-line block ×5, first 2 shown]
	s_waitcnt vmcnt(0)
	v_mul_f16_sdwa v112, v114, v46 dst_sel:DWORD dst_unused:UNUSED_PAD src0_sel:DWORD src1_sel:WORD_1
	v_fma_f16 v112, v49, v46, -v112
	v_mul_f16_sdwa v49, v49, v46 dst_sel:DWORD dst_unused:UNUSED_PAD src0_sel:DWORD src1_sel:WORD_1
	v_fma_f16 v49, v114, v46, v49
	v_mul_f16_sdwa v114, v115, v47 dst_sel:DWORD dst_unused:UNUSED_PAD src0_sel:DWORD src1_sel:WORD_1
	v_fma_f16 v114, v51, v47, -v114
	v_mul_f16_sdwa v51, v51, v47 dst_sel:DWORD dst_unused:UNUSED_PAD src0_sel:DWORD src1_sel:WORD_1
	v_add_f16_e32 v117, v116, v52
	v_fma_f16 v51, v115, v47, v51
	v_add_f16_e32 v115, v0, v116
	v_fma_f16 v0, v117, -0.5, v0
	v_sub_f16_e32 v117, v2, v4
	v_fma_f16 v118, v117, s0, v0
	v_fma_f16 v0, v117, s1, v0
	v_add_f16_e32 v117, v20, v2
	v_add_f16_e32 v2, v2, v4
	;; [unrolled: 1-line block ×4, first 2 shown]
	v_fma_f16 v2, v2, -0.5, v20
	v_sub_f16_e32 v4, v116, v52
	v_add_f16_e32 v52, v53, v57
	v_fma_f16 v20, v4, s1, v2
	v_fma_f16 v2, v4, s0, v2
	v_add_f16_e32 v4, v1, v53
	v_fma_f16 v1, v52, -0.5, v1
	v_sub_f16_e32 v52, v3, v5
	v_fma_f16 v116, v52, s0, v1
	v_fma_f16 v1, v52, s1, v1
	v_add_f16_e32 v52, v56, v3
	v_add_f16_e32 v3, v3, v5
	v_add_f16_e32 v52, v52, v5
	v_fma_f16 v3, v3, -0.5, v56
	v_sub_f16_e32 v5, v53, v57
	v_add_f16_e32 v56, v58, v66
	v_fma_f16 v53, v5, s1, v3
	v_fma_f16 v3, v5, s0, v3
	v_add_f16_e32 v5, v6, v58
	v_fma_f16 v6, v56, -0.5, v6
	v_sub_f16_e32 v56, v8, v10
	v_add_f16_e32 v4, v4, v57
	v_fma_f16 v57, v56, s0, v6
	v_fma_f16 v6, v56, s1, v6
	v_add_f16_e32 v56, v59, v8
	v_add_f16_e32 v8, v8, v10
	v_add_f16_e32 v56, v56, v10
	v_fma_f16 v8, v8, -0.5, v59
	v_sub_f16_e32 v10, v58, v66
	v_add_f16_e32 v59, v67, v69
	v_fma_f16 v58, v10, s1, v8
	v_fma_f16 v8, v10, s0, v8
	v_add_f16_e32 v10, v7, v67
	v_fma_f16 v7, v59, -0.5, v7
	v_sub_f16_e32 v59, v9, v11
	v_add_f16_e32 v5, v5, v66
	;; [unrolled: 14-line block ×3, first 2 shown]
	v_fma_f16 v69, v68, s0, v12
	v_fma_f16 v12, v68, s1, v12
	v_add_f16_e32 v68, v76, v14
	v_add_f16_e32 v14, v14, v16
	;; [unrolled: 1-line block ×3, first 2 shown]
	v_fma_f16 v14, v14, -0.5, v76
	v_sub_f16_e32 v16, v71, v105
	v_add_f16_e32 v76, v106, v108
	v_fma_f16 v71, v16, s1, v14
	v_fma_f16 v14, v16, s0, v14
	v_add_f16_e32 v16, v13, v106
	v_fma_f16 v13, v76, -0.5, v13
	v_sub_f16_e32 v76, v15, v17
	v_fma_f16 v119, v76, s0, v13
	v_fma_f16 v13, v76, s1, v13
	v_add_f16_e32 v76, v107, v15
	v_add_f16_e32 v15, v15, v17
	;; [unrolled: 1-line block ×4, first 2 shown]
	v_fma_f16 v15, v15, -0.5, v107
	v_sub_f16_e32 v17, v106, v108
	v_add_f16_e32 v105, v109, v111
	v_fma_f16 v120, v17, s1, v15
	v_fma_f16 v15, v17, s0, v15
	v_add_f16_e32 v17, v18, v109
	v_fma_f16 v18, v105, -0.5, v18
	v_sub_f16_e32 v105, v48, v50
	v_fma_f16 v121, v105, s0, v18
	v_fma_f16 v18, v105, s1, v18
	v_add_f16_e32 v105, v110, v48
	v_add_f16_e32 v48, v48, v50
	v_add_f16_e32 v122, v105, v50
	v_fma_f16 v48, v48, -0.5, v110
	v_sub_f16_e32 v50, v109, v111
	v_add_f16_e32 v105, v112, v114
	v_fma_f16 v110, v50, s1, v48
	v_fma_f16 v48, v50, s0, v48
	v_add_f16_e32 v50, v19, v112
	v_fma_f16 v19, v105, -0.5, v19
	v_sub_f16_e32 v105, v49, v51
	v_pack_b32_f16 v0, v0, v2
	v_pack_b32_f16 v2, v4, v52
	v_add_f16_e32 v17, v17, v111
	v_fma_f16 v111, v105, s0, v19
	v_fma_f16 v19, v105, s1, v19
	v_add_f16_e32 v105, v113, v49
	v_add_f16_e32 v49, v49, v51
	ds_write2_b32 v70, v0, v2 offset0:34 offset1:51
	v_pack_b32_f16 v0, v116, v53
	v_pack_b32_f16 v1, v1, v3
	v_add_f16_e32 v123, v105, v51
	v_fma_f16 v49, v49, -0.5, v113
	v_sub_f16_e32 v51, v112, v114
	ds_write2_b32 v70, v0, v1 offset0:68 offset1:85
	v_and_b32_e32 v0, 0xff, v60
	v_fma_f16 v112, v51, s1, v49
	v_fma_f16 v49, v51, s0, v49
	v_pack_b32_f16 v51, v115, v117
	v_pack_b32_f16 v20, v118, v20
	v_lshl_add_u32 v105, v0, 2, v85
	v_pack_b32_f16 v0, v5, v56
	v_pack_b32_f16 v1, v57, v58
	ds_write2_b32 v70, v51, v20 offset1:17
	ds_write2_b32 v105, v0, v1 offset0:102 offset1:119
	v_pack_b32_f16 v0, v6, v8
	ds_write_b32 v105, v0 offset:544
	v_and_b32_e32 v0, 0xff, v61
	v_lshl_add_u32 v106, v0, 2, v85
	v_pack_b32_f16 v0, v10, v59
	v_pack_b32_f16 v1, v66, v67
	ds_write2_b32 v106, v0, v1 offset0:153 offset1:170
	v_pack_b32_f16 v0, v7, v9
	ds_write_b32 v106, v0 offset:748
	v_and_b32_e32 v0, 0xff, v62
	v_lshl_add_u32 v107, v0, 2, v85
	v_pack_b32_f16 v0, v11, v68
	v_pack_b32_f16 v1, v69, v71
	ds_write2_b32 v107, v0, v1 offset0:204 offset1:221
	v_pack_b32_f16 v0, v12, v14
	ds_write_b32 v107, v0 offset:952
	v_and_b32_e32 v0, 0xff, v63
	v_add_f16_e32 v16, v16, v108
	v_lshl_add_u32 v108, v0, 2, v85
	v_pack_b32_f16 v0, v16, v76
	v_pack_b32_f16 v1, v119, v120
	v_add_u32_e32 v2, 0x200, v108
	ds_write2_b32 v2, v0, v1 offset0:127 offset1:144
	v_pack_b32_f16 v0, v13, v15
	ds_write_b32 v108, v0 offset:1156
	v_and_b32_e32 v0, 0xff, v64
	v_lshl_add_u32 v109, v0, 2, v85
	v_pack_b32_f16 v0, v17, v122
	v_pack_b32_f16 v1, v121, v110
	v_add_u32_e32 v2, 0x400, v109
	ds_write2_b32 v2, v0, v1 offset0:50 offset1:67
	v_pack_b32_f16 v0, v18, v48
	ds_write_b32 v109, v0 offset:1360
	v_and_b32_e32 v0, 0xff, v65
	v_add_f16_e32 v50, v50, v114
	v_lshl_add_u32 v110, v0, 2, v85
	v_pack_b32_f16 v0, v50, v123
	v_pack_b32_f16 v1, v111, v112
	v_add_u32_e32 v2, 0x400, v110
	ds_write2_b32 v2, v0, v1 offset0:101 offset1:118
	v_pack_b32_f16 v0, v19, v49
	v_mad_u64_u32 v[18:19], s[0:1], v90, 28, s[4:5]
	ds_write_b32 v110, v0 offset:1564
	s_waitcnt lgkmcnt(0)
	; wave barrier
	s_waitcnt lgkmcnt(0)
	global_load_dwordx4 v[0:3], v[18:19], off offset:136
	global_load_dwordx3 v[12:14], v[18:19], off offset:152
	global_load_dwordx4 v[4:7], v[18:19], off offset:612
	ds_read2_b32 v[48:49], v70 offset1:17
	ds_read2_b32 v[50:51], v70 offset0:34 offset1:51
	ds_read2_b32 v[52:53], v70 offset0:102 offset1:119
	global_load_dwordx3 v[15:17], v[18:19], off offset:628
	ds_read2_b32 v[56:57], v70 offset0:136 offset1:153
	ds_read2_b32 v[58:59], v70 offset0:204 offset1:221
	;; [unrolled: 1-line block ×5, first 2 shown]
	global_load_dwordx4 v[8:11], v[18:19], off offset:1088
	s_waitcnt lgkmcnt(6)
	v_lshrrev_b32_e32 v76, 16, v51
	global_load_dwordx3 v[18:20], v[18:19], off offset:1104
	s_waitcnt lgkmcnt(5)
	v_lshrrev_b32_e32 v115, 16, v52
	s_waitcnt lgkmcnt(4)
	v_lshrrev_b32_e32 v116, 16, v57
	;; [unrolled: 2-line block ×4, first 2 shown]
	ds_read2_b32 v[66:67], v70 offset0:68 offset1:85
	s_waitcnt lgkmcnt(2)
	v_lshrrev_b32_e32 v119, 16, v62
	s_waitcnt lgkmcnt(1)
	v_lshrrev_b32_e32 v120, 16, v65
	ds_read2_b32 v[68:69], v70 offset0:170 offset1:187
	v_lshrrev_b32_e32 v123, 16, v53
	s_waitcnt lgkmcnt(1)
	v_lshrrev_b32_e32 v122, 16, v66
	ds_read2_b32 v[111:112], v34 offset0:16 offset1:33
	;; [unrolled: 4-line block ×3, first 2 shown]
	v_lshrrev_b32_e32 v127, 16, v63
	s_waitcnt lgkmcnt(1)
	v_lshrrev_b32_e32 v126, 16, v111
	v_lshrrev_b32_e32 v130, 16, v67
	;; [unrolled: 1-line block ×3, first 2 shown]
	s_waitcnt lgkmcnt(0)
	v_lshrrev_b32_e32 v128, 16, v113
	v_lshrrev_b32_e32 v132, 16, v69
	;; [unrolled: 1-line block ×7, first 2 shown]
	s_mov_b32 s0, 0xb9a8
	s_movk_i32 s1, 0x39a8
	v_lshrrev_b32_e32 v121, 16, v49
	v_lshrrev_b32_e32 v129, 16, v50
	s_waitcnt vmcnt(5)
	v_mul_f16_sdwa v137, v76, v0 dst_sel:DWORD dst_unused:UNUSED_PAD src0_sel:DWORD src1_sel:WORD_1
	v_fma_f16 v137, v51, v0, -v137
	v_mul_f16_sdwa v51, v51, v0 dst_sel:DWORD dst_unused:UNUSED_PAD src0_sel:DWORD src1_sel:WORD_1
	v_fma_f16 v51, v76, v0, v51
	v_mul_f16_sdwa v76, v115, v1 dst_sel:DWORD dst_unused:UNUSED_PAD src0_sel:DWORD src1_sel:WORD_1
	v_fma_f16 v76, v52, v1, -v76
	v_mul_f16_sdwa v52, v52, v1 dst_sel:DWORD dst_unused:UNUSED_PAD src0_sel:DWORD src1_sel:WORD_1
	v_fma_f16 v52, v115, v1, v52
	;; [unrolled: 4-line block ×4, first 2 shown]
	s_waitcnt vmcnt(4)
	v_mul_f16_sdwa v117, v118, v12 dst_sel:DWORD dst_unused:UNUSED_PAD src0_sel:DWORD src1_sel:WORD_1
	v_fma_f16 v117, v61, v12, -v117
	v_mul_f16_sdwa v61, v61, v12 dst_sel:DWORD dst_unused:UNUSED_PAD src0_sel:DWORD src1_sel:WORD_1
	v_fma_f16 v61, v118, v12, v61
	v_mul_f16_sdwa v118, v119, v13 dst_sel:DWORD dst_unused:UNUSED_PAD src0_sel:DWORD src1_sel:WORD_1
	v_fma_f16 v118, v62, v13, -v118
	v_mul_f16_sdwa v62, v62, v13 dst_sel:DWORD dst_unused:UNUSED_PAD src0_sel:DWORD src1_sel:WORD_1
	v_fma_f16 v62, v119, v13, v62
	v_mul_f16_sdwa v119, v120, v14 dst_sel:DWORD dst_unused:UNUSED_PAD src0_sel:DWORD src1_sel:WORD_1
	v_fma_f16 v119, v65, v14, -v119
	v_mul_f16_sdwa v65, v65, v14 dst_sel:DWORD dst_unused:UNUSED_PAD src0_sel:DWORD src1_sel:WORD_1
	v_fma_f16 v65, v120, v14, v65
	s_waitcnt vmcnt(3)
	v_mul_f16_sdwa v120, v122, v4 dst_sel:DWORD dst_unused:UNUSED_PAD src0_sel:DWORD src1_sel:WORD_1
	v_fma_f16 v120, v66, v4, -v120
	v_mul_f16_sdwa v66, v66, v4 dst_sel:DWORD dst_unused:UNUSED_PAD src0_sel:DWORD src1_sel:WORD_1
	v_fma_f16 v66, v122, v4, v66
	v_mul_f16_sdwa v122, v123, v5 dst_sel:DWORD dst_unused:UNUSED_PAD src0_sel:DWORD src1_sel:WORD_1
	v_fma_f16 v122, v53, v5, -v122
	v_mul_f16_sdwa v53, v53, v5 dst_sel:DWORD dst_unused:UNUSED_PAD src0_sel:DWORD src1_sel:WORD_1
	v_fma_f16 v53, v123, v5, v53
	;; [unrolled: 4-line block ×4, first 2 shown]
	s_waitcnt vmcnt(2)
	v_mul_f16_sdwa v125, v126, v15 dst_sel:DWORD dst_unused:UNUSED_PAD src0_sel:DWORD src1_sel:WORD_1
	v_fma_f16 v125, v111, v15, -v125
	v_mul_f16_sdwa v111, v111, v15 dst_sel:DWORD dst_unused:UNUSED_PAD src0_sel:DWORD src1_sel:WORD_1
	v_fma_f16 v111, v126, v15, v111
	v_mul_f16_sdwa v126, v127, v16 dst_sel:DWORD dst_unused:UNUSED_PAD src0_sel:DWORD src1_sel:WORD_1
	v_fma_f16 v126, v63, v16, -v126
	v_mul_f16_sdwa v63, v63, v16 dst_sel:DWORD dst_unused:UNUSED_PAD src0_sel:DWORD src1_sel:WORD_1
	v_fma_f16 v63, v127, v16, v63
	;; [unrolled: 4-line block ×3, first 2 shown]
	s_waitcnt vmcnt(1)
	v_mul_f16_sdwa v128, v130, v8 dst_sel:DWORD dst_unused:UNUSED_PAD src0_sel:DWORD src1_sel:WORD_1
	v_fma_f16 v128, v67, v8, -v128
	v_mul_f16_sdwa v67, v67, v8 dst_sel:DWORD dst_unused:UNUSED_PAD src0_sel:DWORD src1_sel:WORD_1
	v_fma_f16 v67, v130, v8, v67
	v_mul_f16_sdwa v130, v131, v9 dst_sel:DWORD dst_unused:UNUSED_PAD src0_sel:DWORD src1_sel:WORD_1
	v_fma_f16 v130, v56, v9, -v130
	v_mul_f16_sdwa v56, v56, v9 dst_sel:DWORD dst_unused:UNUSED_PAD src0_sel:DWORD src1_sel:WORD_1
	v_fma_f16 v56, v131, v9, v56
	;; [unrolled: 4-line block ×4, first 2 shown]
	s_waitcnt vmcnt(0)
	v_mul_f16_sdwa v133, v134, v18 dst_sel:DWORD dst_unused:UNUSED_PAD src0_sel:DWORD src1_sel:WORD_1
	v_fma_f16 v133, v112, v18, -v133
	v_mul_f16_sdwa v112, v112, v18 dst_sel:DWORD dst_unused:UNUSED_PAD src0_sel:DWORD src1_sel:WORD_1
	v_fma_f16 v112, v134, v18, v112
	v_mul_f16_sdwa v134, v135, v19 dst_sel:DWORD dst_unused:UNUSED_PAD src0_sel:DWORD src1_sel:WORD_1
	v_fma_f16 v134, v64, v19, -v134
	v_mul_f16_sdwa v64, v64, v19 dst_sel:DWORD dst_unused:UNUSED_PAD src0_sel:DWORD src1_sel:WORD_1
	v_fma_f16 v64, v135, v19, v64
	v_mul_f16_sdwa v135, v136, v20 dst_sel:DWORD dst_unused:UNUSED_PAD src0_sel:DWORD src1_sel:WORD_1
	v_fma_f16 v135, v114, v20, -v135
	v_mul_f16_sdwa v114, v114, v20 dst_sel:DWORD dst_unused:UNUSED_PAD src0_sel:DWORD src1_sel:WORD_1
	v_sub_f16_e32 v116, v48, v116
	v_sub_f16_e32 v58, v71, v58
	;; [unrolled: 1-line block ×8, first 2 shown]
	v_fma_f16 v114, v136, v20, v114
	v_fma_f16 v48, v48, 2.0, -v116
	v_fma_f16 v71, v71, 2.0, -v58
	;; [unrolled: 1-line block ×8, first 2 shown]
	v_sub_f16_e32 v76, v48, v76
	v_sub_f16_e32 v52, v71, v52
	v_add_f16_e32 v118, v58, v118
	v_sub_f16_e32 v115, v136, v115
	v_sub_f16_e32 v57, v51, v57
	v_add_f16_e32 v119, v61, v119
	v_fma_f16 v48, v48, 2.0, -v76
	v_fma_f16 v71, v71, 2.0, -v52
	v_sub_f16_e32 v62, v116, v62
	v_fma_f16 v58, v58, 2.0, -v118
	v_fma_f16 v136, v136, 2.0, -v115
	;; [unrolled: 1-line block ×3, first 2 shown]
	v_sub_f16_e32 v65, v117, v65
	v_fma_f16 v61, v61, 2.0, -v119
	v_fma_f16 v116, v116, 2.0, -v62
	;; [unrolled: 1-line block ×3, first 2 shown]
	v_sub_f16_e32 v136, v48, v136
	v_sub_f16_e32 v137, v71, v51
	v_fma_f16 v51, v61, s0, v58
	v_fma_f16 v138, v48, 2.0, -v136
	v_fma_f16 v48, v117, s0, v116
	v_fma_f16 v139, v117, s1, v51
	;; [unrolled: 1-line block ×6, first 2 shown]
	v_fma_f16 v140, v116, 2.0, -v61
	v_fma_f16 v143, v119, s0, v48
	v_fma_f16 v144, v118, 2.0, -v65
	v_sub_f16_e32 v48, v49, v124
	v_sub_f16_e32 v51, v121, v59
	;; [unrolled: 1-line block ×5, first 2 shown]
	v_add_f16_e32 v141, v52, v115
	v_fma_f16 v49, v49, 2.0, -v48
	v_sub_f16_e32 v63, v53, v63
	v_fma_f16 v115, v122, 2.0, -v59
	v_sub_f16_e32 v111, v66, v111
	;; [unrolled: 2-line block ×3, first 2 shown]
	v_fma_f16 v119, v123, 2.0, -v118
	v_fma_f16 v142, v52, 2.0, -v141
	;; [unrolled: 1-line block ×6, first 2 shown]
	v_sub_f16_e32 v115, v49, v115
	v_sub_f16_e32 v119, v117, v119
	v_sub_f16_e32 v53, v52, v53
	v_fma_f16 v49, v49, 2.0, -v115
	v_sub_f16_e32 v63, v48, v63
	v_sub_f16_e32 v68, v66, v68
	v_fma_f16 v117, v117, 2.0, -v119
	v_sub_f16_e32 v113, v116, v113
	v_fma_f16 v52, v52, 2.0, -v53
	v_add_f16_e32 v59, v51, v59
	v_fma_f16 v48, v48, 2.0, -v63
	v_fma_f16 v66, v66, 2.0, -v68
	v_add_f16_e32 v118, v111, v118
	v_fma_f16 v116, v116, 2.0, -v113
	v_sub_f16_e32 v121, v49, v117
	v_fma_f16 v51, v51, 2.0, -v59
	v_fma_f16 v111, v111, 2.0, -v118
	v_sub_f16_e32 v66, v52, v66
	v_fma_f16 v122, v49, 2.0, -v121
	v_fma_f16 v49, v116, s0, v48
	v_fma_f16 v123, v52, 2.0, -v66
	v_fma_f16 v52, v111, s0, v51
	v_fma_f16 v124, v111, s0, v49
	v_add_f16_e32 v145, v53, v119
	v_fma_f16 v49, v118, s1, v59
	v_sub_f16_e32 v111, v67, v112
	v_sub_f16_e32 v114, v69, v114
	v_fma_f16 v125, v116, s1, v52
	v_fma_f16 v126, v48, 2.0, -v124
	v_fma_f16 v147, v53, 2.0, -v145
	v_fma_f16 v48, v113, s1, v63
	v_fma_f16 v149, v113, s1, v49
	v_sub_f16_e32 v49, v129, v60
	v_sub_f16_e32 v52, v130, v134
	;; [unrolled: 1-line block ×4, first 2 shown]
	v_fma_f16 v67, v67, 2.0, -v111
	v_fma_f16 v69, v69, 2.0, -v114
	;; [unrolled: 1-line block ×3, first 2 shown]
	v_sub_f16_e32 v68, v115, v68
	v_fma_f16 v148, v118, s0, v48
	v_sub_f16_e32 v48, v50, v132
	v_fma_f16 v51, v129, 2.0, -v49
	v_fma_f16 v56, v56, 2.0, -v53
	;; [unrolled: 1-line block ×3, first 2 shown]
	v_sub_f16_e32 v113, v131, v135
	v_add_f16_e32 v128, v49, v52
	v_sub_f16_e32 v69, v67, v69
	v_fma_f16 v146, v115, 2.0, -v68
	v_fma_f16 v50, v50, 2.0, -v48
	;; [unrolled: 1-line block ×4, first 2 shown]
	v_sub_f16_e32 v56, v51, v56
	v_sub_f16_e32 v119, v48, v53
	v_fma_f16 v53, v49, 2.0, -v128
	v_fma_f16 v49, v67, 2.0, -v69
	v_sub_f16_e32 v67, v64, v114
	v_sub_f16_e32 v60, v50, v60
	v_fma_f16 v51, v51, 2.0, -v56
	v_fma_f16 v52, v48, 2.0, -v119
	v_sub_f16_e32 v117, v112, v115
	v_add_f16_e32 v113, v111, v113
	v_fma_f16 v64, v64, 2.0, -v67
	v_fma_f16 v50, v50, 2.0, -v60
	;; [unrolled: 1-line block ×4, first 2 shown]
	v_sub_f16_e32 v115, v51, v49
	v_fma_f16 v49, v64, s0, v52
	v_sub_f16_e32 v57, v76, v57
	v_sub_f16_e32 v48, v50, v48
	v_fma_f16 v49, v111, s0, v49
	v_fma_f16 v58, v58, 2.0, -v139
	v_fma_f16 v76, v76, 2.0, -v57
	;; [unrolled: 1-line block ×3, first 2 shown]
	v_fma_f16 v50, v111, s0, v53
	v_fma_f16 v111, v52, 2.0, -v49
	v_sub_f16_e32 v52, v60, v69
	v_fma_f16 v62, v62, 2.0, -v143
	v_fma_f16 v116, v64, s1, v50
	v_fma_f16 v50, v60, 2.0, -v52
	v_pack_b32_f16 v58, v140, v58
	v_pack_b32_f16 v60, v76, v142
	ds_write2_b32 v70, v58, v60 offset0:51 offset1:102
	v_pack_b32_f16 v58, v62, v144
	v_pack_b32_f16 v60, v136, v137
	v_add_f16_e32 v118, v56, v117
	ds_write2_b32 v70, v58, v60 offset0:153 offset1:204
	v_pack_b32_f16 v58, v61, v139
	v_pack_b32_f16 v57, v57, v141
	v_add_u32_e32 v60, 0x200, v70
	v_fma_f16 v71, v71, 2.0, -v137
	v_fma_f16 v129, v51, 2.0, -v115
	;; [unrolled: 1-line block ×3, first 2 shown]
	v_fma_f16 v56, v113, s1, v128
	ds_write2_b32 v60, v58, v57 offset0:127 offset1:178
	v_pack_b32_f16 v57, v143, v65
	v_fma_f16 v112, v53, 2.0, -v116
	v_fma_f16 v51, v67, s1, v119
	v_fma_f16 v120, v67, s1, v56
	v_pack_b32_f16 v56, v138, v71
	ds_write_b32 v70, v57 offset:1428
	v_pack_b32_f16 v57, v122, v123
	v_pack_b32_f16 v62, v114, v129
	v_fma_f16 v53, v113, s0, v51
	ds_write2_b32 v70, v56, v57 offset1:17
	v_lshl_add_u32 v113, v55, 2, v54
	v_pack_b32_f16 v54, v126, v127
	ds_write_b32 v70, v62 offset:136
	v_pack_b32_f16 v62, v111, v112
	v_fma_f16 v63, v63, 2.0, -v148
	v_fma_f16 v59, v59, 2.0, -v149
	;; [unrolled: 1-line block ×4, first 2 shown]
	v_pack_b32_f16 v55, v146, v147
	ds_write2_b32 v113, v54, v62 offset0:68 offset1:85
	v_pack_b32_f16 v54, v50, v117
	v_pack_b32_f16 v56, v63, v59
	ds_write2_b32 v113, v55, v54 offset0:119 offset1:136
	v_pack_b32_f16 v54, v51, v119
	;; [unrolled: 3-line block ×4, first 2 shown]
	v_add_u32_e32 v55, 0x400, v113
	v_pack_b32_f16 v59, v68, v145
	ds_write2_b32 v55, v58, v54 offset0:16 offset1:33
	v_pack_b32_f16 v54, v52, v118
	v_pack_b32_f16 v61, v148, v149
	ds_write2_b32 v55, v59, v54 offset0:67 offset1:84
	v_pack_b32_f16 v54, v53, v120
	ds_write2_b32 v55, v61, v54 offset0:118 offset1:135
	s_waitcnt lgkmcnt(0)
	; wave barrier
	s_waitcnt lgkmcnt(0)
	global_load_dword v57, v[21:22], off offset:1632
	s_add_u32 s0, s2, 0x660
	s_addc_u32 s1, s3, 0
	v_lshlrev_b32_e32 v54, 2, v90
	global_load_dword v59, v54, s[0:1] offset:96
	global_load_dword v61, v54, s[0:1] offset:192
	;; [unrolled: 1-line block ×9, first 2 shown]
	ds_read2_b32 v[55:56], v70 offset1:24
	global_load_dword v69, v54, s[0:1] offset:960
	global_load_dword v76, v54, s[0:1] offset:1056
	global_load_dword v121, v54, s[0:1] offset:1152
	s_waitcnt lgkmcnt(0)
	v_lshrrev_b32_e32 v58, 16, v55
	s_waitcnt vmcnt(12)
	v_mul_f16_sdwa v71, v58, v57 dst_sel:DWORD dst_unused:UNUSED_PAD src0_sel:DWORD src1_sel:WORD_1
	v_fma_f16 v71, v55, v57, -v71
	v_mul_f16_sdwa v55, v55, v57 dst_sel:DWORD dst_unused:UNUSED_PAD src0_sel:DWORD src1_sel:WORD_1
	v_fma_f16 v55, v58, v57, v55
	v_pack_b32_f16 v55, v71, v55
	v_lshrrev_b32_e32 v71, 16, v56
	s_waitcnt vmcnt(11)
	v_mul_f16_sdwa v57, v71, v59 dst_sel:DWORD dst_unused:UNUSED_PAD src0_sel:DWORD src1_sel:WORD_1
	v_fma_f16 v114, v56, v59, -v57
	v_mul_f16_sdwa v56, v56, v59 dst_sel:DWORD dst_unused:UNUSED_PAD src0_sel:DWORD src1_sel:WORD_1
	ds_read2_b32 v[57:58], v70 offset0:48 offset1:72
	v_fma_f16 v56, v71, v59, v56
	global_load_dword v59, v54, s[0:1] offset:1248
	global_load_dword v71, v54, s[0:1] offset:1344
	v_pack_b32_f16 v56, v114, v56
	ds_write2_b32 v70, v55, v56 offset1:24
	s_waitcnt lgkmcnt(1)
	v_lshrrev_b32_e32 v55, 16, v57
	s_waitcnt vmcnt(12)
	v_mul_f16_sdwa v56, v55, v61 dst_sel:DWORD dst_unused:UNUSED_PAD src0_sel:DWORD src1_sel:WORD_1
	v_fma_f16 v56, v57, v61, -v56
	v_mul_f16_sdwa v57, v57, v61 dst_sel:DWORD dst_unused:UNUSED_PAD src0_sel:DWORD src1_sel:WORD_1
	v_fma_f16 v55, v55, v61, v57
	v_lshrrev_b32_e32 v61, 16, v58
	v_pack_b32_f16 v57, v56, v55
	s_waitcnt vmcnt(11)
	v_mul_f16_sdwa v55, v61, v62 dst_sel:DWORD dst_unused:UNUSED_PAD src0_sel:DWORD src1_sel:WORD_1
	v_fma_f16 v114, v58, v62, -v55
	v_mul_f16_sdwa v58, v58, v62 dst_sel:DWORD dst_unused:UNUSED_PAD src0_sel:DWORD src1_sel:WORD_1
	v_fma_f16 v58, v61, v62, v58
	global_load_dword v61, v54, s[0:1] offset:1440
	global_load_dword v62, v54, s[0:1] offset:1536
	ds_read2_b32 v[55:56], v70 offset0:96 offset1:120
	v_pack_b32_f16 v58, v114, v58
	ds_write2_b32 v70, v57, v58 offset0:48 offset1:72
	s_waitcnt lgkmcnt(1)
	v_lshrrev_b32_e32 v57, 16, v55
	s_waitcnt vmcnt(12)
	v_mul_f16_sdwa v58, v57, v63 dst_sel:DWORD dst_unused:UNUSED_PAD src0_sel:DWORD src1_sel:WORD_1
	v_fma_f16 v58, v55, v63, -v58
	v_mul_f16_sdwa v55, v55, v63 dst_sel:DWORD dst_unused:UNUSED_PAD src0_sel:DWORD src1_sel:WORD_1
	v_fma_f16 v55, v57, v63, v55
	v_lshrrev_b32_e32 v63, 16, v56
	s_waitcnt vmcnt(11)
	v_mul_f16_sdwa v57, v63, v64 dst_sel:DWORD dst_unused:UNUSED_PAD src0_sel:DWORD src1_sel:WORD_1
	v_pack_b32_f16 v55, v58, v55
	v_fma_f16 v114, v56, v64, -v57
	ds_read2_b32 v[57:58], v70 offset0:144 offset1:168
	v_mul_f16_sdwa v56, v56, v64 dst_sel:DWORD dst_unused:UNUSED_PAD src0_sel:DWORD src1_sel:WORD_1
	v_fma_f16 v56, v63, v64, v56
	v_pack_b32_f16 v56, v114, v56
	ds_write2_b32 v70, v55, v56 offset0:96 offset1:120
	s_waitcnt lgkmcnt(1)
	v_lshrrev_b32_e32 v55, 16, v57
	s_waitcnt vmcnt(10)
	v_mul_f16_sdwa v56, v55, v65 dst_sel:DWORD dst_unused:UNUSED_PAD src0_sel:DWORD src1_sel:WORD_1
	v_fma_f16 v56, v57, v65, -v56
	v_mul_f16_sdwa v57, v57, v65 dst_sel:DWORD dst_unused:UNUSED_PAD src0_sel:DWORD src1_sel:WORD_1
	v_fma_f16 v55, v55, v65, v57
	v_lshrrev_b32_e32 v63, 16, v58
	v_pack_b32_f16 v57, v56, v55
	s_waitcnt vmcnt(9)
	v_mul_f16_sdwa v55, v63, v66 dst_sel:DWORD dst_unused:UNUSED_PAD src0_sel:DWORD src1_sel:WORD_1
	v_fma_f16 v64, v58, v66, -v55
	ds_read2_b32 v[55:56], v70 offset0:192 offset1:216
	v_mul_f16_sdwa v58, v58, v66 dst_sel:DWORD dst_unused:UNUSED_PAD src0_sel:DWORD src1_sel:WORD_1
	v_fma_f16 v58, v63, v66, v58
	v_pack_b32_f16 v58, v64, v58
	ds_write2_b32 v70, v57, v58 offset0:144 offset1:168
	s_waitcnt lgkmcnt(1)
	v_lshrrev_b32_e32 v57, 16, v55
	s_waitcnt vmcnt(8)
	v_mul_f16_sdwa v58, v57, v67 dst_sel:DWORD dst_unused:UNUSED_PAD src0_sel:DWORD src1_sel:WORD_1
	v_fma_f16 v58, v55, v67, -v58
	v_mul_f16_sdwa v55, v55, v67 dst_sel:DWORD dst_unused:UNUSED_PAD src0_sel:DWORD src1_sel:WORD_1
	v_lshrrev_b32_e32 v63, 16, v56
	v_fma_f16 v55, v57, v67, v55
	s_waitcnt vmcnt(7)
	v_mul_f16_sdwa v57, v63, v68 dst_sel:DWORD dst_unused:UNUSED_PAD src0_sel:DWORD src1_sel:WORD_1
	v_pack_b32_f16 v55, v58, v55
	v_fma_f16 v64, v56, v68, -v57
	ds_read2_b32 v[57:58], v60 offset0:112 offset1:136
	v_mul_f16_sdwa v56, v56, v68 dst_sel:DWORD dst_unused:UNUSED_PAD src0_sel:DWORD src1_sel:WORD_1
	v_fma_f16 v56, v63, v68, v56
	v_pack_b32_f16 v56, v64, v56
	ds_write2_b32 v70, v55, v56 offset0:192 offset1:216
	s_waitcnt lgkmcnt(1)
	v_lshrrev_b32_e32 v55, 16, v57
	s_waitcnt vmcnt(6)
	v_mul_f16_sdwa v56, v55, v69 dst_sel:DWORD dst_unused:UNUSED_PAD src0_sel:DWORD src1_sel:WORD_1
	v_fma_f16 v56, v57, v69, -v56
	v_mul_f16_sdwa v57, v57, v69 dst_sel:DWORD dst_unused:UNUSED_PAD src0_sel:DWORD src1_sel:WORD_1
	v_fma_f16 v55, v55, v69, v57
	v_lshrrev_b32_e32 v63, 16, v58
	v_pack_b32_f16 v57, v56, v55
	s_waitcnt vmcnt(5)
	v_mul_f16_sdwa v55, v63, v76 dst_sel:DWORD dst_unused:UNUSED_PAD src0_sel:DWORD src1_sel:WORD_1
	v_fma_f16 v64, v58, v76, -v55
	ds_read2_b32 v[55:56], v34 offset0:32 offset1:56
	v_mul_f16_sdwa v58, v58, v76 dst_sel:DWORD dst_unused:UNUSED_PAD src0_sel:DWORD src1_sel:WORD_1
	v_fma_f16 v58, v63, v76, v58
	v_pack_b32_f16 v58, v64, v58
	ds_write2_b32 v60, v57, v58 offset0:112 offset1:136
	s_waitcnt lgkmcnt(1)
	v_lshrrev_b32_e32 v57, 16, v55
	s_waitcnt vmcnt(4)
	v_mul_f16_sdwa v58, v57, v121 dst_sel:DWORD dst_unused:UNUSED_PAD src0_sel:DWORD src1_sel:WORD_1
	v_fma_f16 v58, v55, v121, -v58
	v_mul_f16_sdwa v55, v55, v121 dst_sel:DWORD dst_unused:UNUSED_PAD src0_sel:DWORD src1_sel:WORD_1
	v_lshrrev_b32_e32 v63, 16, v56
	v_fma_f16 v55, v57, v121, v55
	s_waitcnt vmcnt(3)
	v_mul_f16_sdwa v57, v63, v59 dst_sel:DWORD dst_unused:UNUSED_PAD src0_sel:DWORD src1_sel:WORD_1
	v_pack_b32_f16 v55, v58, v55
	v_fma_f16 v64, v56, v59, -v57
	ds_read2_b32 v[57:58], v34 offset0:80 offset1:104
	v_mul_f16_sdwa v56, v56, v59 dst_sel:DWORD dst_unused:UNUSED_PAD src0_sel:DWORD src1_sel:WORD_1
	v_fma_f16 v56, v63, v59, v56
	v_pack_b32_f16 v56, v64, v56
	ds_write2_b32 v34, v55, v56 offset0:32 offset1:56
	s_waitcnt lgkmcnt(1)
	v_lshrrev_b32_e32 v55, 16, v57
	s_waitcnt vmcnt(2)
	v_mul_f16_sdwa v56, v55, v71 dst_sel:DWORD dst_unused:UNUSED_PAD src0_sel:DWORD src1_sel:WORD_1
	v_fma_f16 v56, v57, v71, -v56
	v_mul_f16_sdwa v57, v57, v71 dst_sel:DWORD dst_unused:UNUSED_PAD src0_sel:DWORD src1_sel:WORD_1
	v_fma_f16 v55, v55, v71, v57
	v_pack_b32_f16 v55, v56, v55
	v_lshrrev_b32_e32 v56, 16, v58
	ds_read_b32 v59, v70 offset:1536
	s_waitcnt vmcnt(1)
	v_mul_f16_sdwa v57, v56, v61 dst_sel:DWORD dst_unused:UNUSED_PAD src0_sel:DWORD src1_sel:WORD_1
	v_fma_f16 v57, v58, v61, -v57
	v_mul_f16_sdwa v58, v58, v61 dst_sel:DWORD dst_unused:UNUSED_PAD src0_sel:DWORD src1_sel:WORD_1
	v_fma_f16 v56, v56, v61, v58
	v_pack_b32_f16 v56, v57, v56
	ds_write2_b32 v34, v55, v56 offset0:80 offset1:104
	s_waitcnt lgkmcnt(1)
	v_lshrrev_b32_e32 v55, 16, v59
	s_waitcnt vmcnt(0)
	v_mul_f16_sdwa v56, v55, v62 dst_sel:DWORD dst_unused:UNUSED_PAD src0_sel:DWORD src1_sel:WORD_1
	v_mul_f16_sdwa v57, v59, v62 dst_sel:DWORD dst_unused:UNUSED_PAD src0_sel:DWORD src1_sel:WORD_1
	v_fma_f16 v56, v59, v62, -v56
	v_fma_f16 v55, v55, v62, v57
	v_pack_b32_f16 v55, v56, v55
	ds_write_b32 v70, v55 offset:1536
	s_and_saveexec_b64 s[2:3], vcc
	s_cbranch_execz .LBB0_9
; %bb.8:
	v_mov_b32_e32 v55, s1
	v_add_co_u32_e64 v54, s[0:1], s0, v54
	v_addc_co_u32_e64 v55, s[0:1], 0, v55, s[0:1]
	global_load_dword v67, v[54:55], off offset:68
	global_load_dword v68, v[54:55], off offset:164
	;; [unrolled: 1-line block ×11, first 2 shown]
	ds_read2_b32 v[56:57], v70 offset0:17 offset1:41
	ds_read2_b32 v[58:59], v70 offset0:65 offset1:89
	;; [unrolled: 1-line block ×4, first 2 shown]
	global_load_dword v126, v[54:55], off offset:1124
	ds_read2_b32 v[65:66], v70 offset0:209 offset1:233
	global_load_dword v127, v[54:55], off offset:1220
	global_load_dword v128, v[54:55], off offset:1316
	;; [unrolled: 1-line block ×5, first 2 shown]
	s_waitcnt lgkmcnt(4)
	v_lshrrev_b32_e32 v54, 16, v56
	v_lshrrev_b32_e32 v55, 16, v57
	s_waitcnt lgkmcnt(3)
	v_lshrrev_b32_e32 v132, 16, v58
	v_lshrrev_b32_e32 v133, 16, v59
	;; [unrolled: 3-line block ×5, first 2 shown]
	s_waitcnt vmcnt(16)
	v_mul_f16_sdwa v140, v54, v67 dst_sel:DWORD dst_unused:UNUSED_PAD src0_sel:DWORD src1_sel:WORD_1
	v_mul_f16_sdwa v141, v56, v67 dst_sel:DWORD dst_unused:UNUSED_PAD src0_sel:DWORD src1_sel:WORD_1
	s_waitcnt vmcnt(15)
	v_mul_f16_sdwa v142, v55, v68 dst_sel:DWORD dst_unused:UNUSED_PAD src0_sel:DWORD src1_sel:WORD_1
	v_mul_f16_sdwa v143, v57, v68 dst_sel:DWORD dst_unused:UNUSED_PAD src0_sel:DWORD src1_sel:WORD_1
	;; [unrolled: 3-line block ×8, first 2 shown]
	v_fma_f16 v56, v56, v67, -v140
	v_fma_f16 v54, v54, v67, v141
	v_fma_f16 v57, v57, v68, -v142
	v_fma_f16 v55, v55, v68, v143
	;; [unrolled: 2-line block ×8, first 2 shown]
	v_pack_b32_f16 v54, v56, v54
	v_pack_b32_f16 v55, v57, v55
	;; [unrolled: 1-line block ×8, first 2 shown]
	ds_write2_b32 v70, v54, v55 offset0:17 offset1:41
	ds_write2_b32 v70, v56, v57 offset0:65 offset1:89
	;; [unrolled: 1-line block ×4, first 2 shown]
	s_waitcnt vmcnt(7)
	v_mul_f16_sdwa v54, v139, v124 dst_sel:DWORD dst_unused:UNUSED_PAD src0_sel:DWORD src1_sel:WORD_1
	v_fma_f16 v56, v66, v124, -v54
	ds_read2_b32 v[54:55], v34 offset0:1 offset1:25
	v_mul_f16_sdwa v156, v138, v123 dst_sel:DWORD dst_unused:UNUSED_PAD src0_sel:DWORD src1_sel:WORD_1
	v_mul_f16_sdwa v157, v65, v123 dst_sel:DWORD dst_unused:UNUSED_PAD src0_sel:DWORD src1_sel:WORD_1
	;; [unrolled: 1-line block ×3, first 2 shown]
	v_fma_f16 v65, v65, v123, -v156
	v_fma_f16 v121, v138, v123, v157
	v_fma_f16 v57, v139, v124, v57
	v_pack_b32_f16 v63, v65, v121
	v_pack_b32_f16 v56, v56, v57
	ds_write2_b32 v70, v63, v56 offset0:209 offset1:233
	s_waitcnt lgkmcnt(1)
	v_lshrrev_b32_e32 v56, 16, v54
	s_waitcnt vmcnt(6)
	v_mul_f16_sdwa v57, v56, v125 dst_sel:DWORD dst_unused:UNUSED_PAD src0_sel:DWORD src1_sel:WORD_1
	v_fma_f16 v57, v54, v125, -v57
	v_mul_f16_sdwa v54, v54, v125 dst_sel:DWORD dst_unused:UNUSED_PAD src0_sel:DWORD src1_sel:WORD_1
	v_lshrrev_b32_e32 v58, 16, v55
	v_fma_f16 v54, v56, v125, v54
	s_waitcnt vmcnt(5)
	v_mul_f16_sdwa v56, v58, v126 dst_sel:DWORD dst_unused:UNUSED_PAD src0_sel:DWORD src1_sel:WORD_1
	v_pack_b32_f16 v54, v57, v54
	v_fma_f16 v59, v55, v126, -v56
	ds_read2_b32 v[56:57], v34 offset0:49 offset1:73
	v_mul_f16_sdwa v55, v55, v126 dst_sel:DWORD dst_unused:UNUSED_PAD src0_sel:DWORD src1_sel:WORD_1
	v_fma_f16 v55, v58, v126, v55
	v_pack_b32_f16 v55, v59, v55
	ds_write2_b32 v34, v54, v55 offset0:1 offset1:25
	s_waitcnt lgkmcnt(1)
	v_lshrrev_b32_e32 v54, 16, v56
	s_waitcnt vmcnt(4)
	v_mul_f16_sdwa v55, v54, v127 dst_sel:DWORD dst_unused:UNUSED_PAD src0_sel:DWORD src1_sel:WORD_1
	v_fma_f16 v55, v56, v127, -v55
	v_mul_f16_sdwa v56, v56, v127 dst_sel:DWORD dst_unused:UNUSED_PAD src0_sel:DWORD src1_sel:WORD_1
	v_fma_f16 v54, v54, v127, v56
	v_lshrrev_b32_e32 v58, 16, v57
	v_pack_b32_f16 v56, v55, v54
	s_waitcnt vmcnt(3)
	v_mul_f16_sdwa v54, v58, v128 dst_sel:DWORD dst_unused:UNUSED_PAD src0_sel:DWORD src1_sel:WORD_1
	v_fma_f16 v59, v57, v128, -v54
	ds_read2_b32 v[54:55], v34 offset0:97 offset1:121
	v_mul_f16_sdwa v57, v57, v128 dst_sel:DWORD dst_unused:UNUSED_PAD src0_sel:DWORD src1_sel:WORD_1
	v_fma_f16 v57, v58, v128, v57
	v_pack_b32_f16 v57, v59, v57
	ds_write2_b32 v34, v56, v57 offset0:49 offset1:73
	s_waitcnt lgkmcnt(1)
	v_lshrrev_b32_e32 v56, 16, v54
	s_waitcnt vmcnt(2)
	v_mul_f16_sdwa v57, v56, v129 dst_sel:DWORD dst_unused:UNUSED_PAD src0_sel:DWORD src1_sel:WORD_1
	v_fma_f16 v57, v54, v129, -v57
	v_mul_f16_sdwa v54, v54, v129 dst_sel:DWORD dst_unused:UNUSED_PAD src0_sel:DWORD src1_sel:WORD_1
	v_fma_f16 v54, v56, v129, v54
	v_lshrrev_b32_e32 v56, 16, v55
	ds_read_b32 v58, v70 offset:1604
	v_pack_b32_f16 v54, v57, v54
	s_waitcnt vmcnt(1)
	v_mul_f16_sdwa v57, v56, v130 dst_sel:DWORD dst_unused:UNUSED_PAD src0_sel:DWORD src1_sel:WORD_1
	v_fma_f16 v57, v55, v130, -v57
	v_mul_f16_sdwa v55, v55, v130 dst_sel:DWORD dst_unused:UNUSED_PAD src0_sel:DWORD src1_sel:WORD_1
	v_fma_f16 v55, v56, v130, v55
	v_pack_b32_f16 v55, v57, v55
	ds_write2_b32 v34, v54, v55 offset0:97 offset1:121
	s_waitcnt lgkmcnt(1)
	v_lshrrev_b32_e32 v54, 16, v58
	s_waitcnt vmcnt(0)
	v_mul_f16_sdwa v55, v54, v131 dst_sel:DWORD dst_unused:UNUSED_PAD src0_sel:DWORD src1_sel:WORD_1
	v_mul_f16_sdwa v56, v58, v131 dst_sel:DWORD dst_unused:UNUSED_PAD src0_sel:DWORD src1_sel:WORD_1
	v_fma_f16 v55, v58, v131, -v55
	v_fma_f16 v54, v54, v131, v56
	v_pack_b32_f16 v54, v55, v54
	ds_write_b32 v70, v54 offset:1604
.LBB0_9:
	s_or_b64 exec, exec, s[2:3]
	s_waitcnt lgkmcnt(0)
	; wave barrier
	s_waitcnt lgkmcnt(0)
	ds_read2_b32 v[54:55], v70 offset1:24
	ds_read2_b32 v[66:67], v70 offset0:48 offset1:72
	ds_read2_b32 v[62:63], v70 offset0:96 offset1:120
	;; [unrolled: 1-line block ×7, first 2 shown]
	ds_read_b32 v121, v70 offset:1536
	v_lshrrev_b32_e32 v34, 16, v101
	s_and_saveexec_b64 s[0:1], vcc
	s_cbranch_execz .LBB0_11
; %bb.10:
	v_lshl_add_u32 v24, v90, 2, v85
	ds_read_b32 v111, v70 offset:68
	ds_read2_b32 v[50:51], v24 offset0:41 offset1:65
	ds_read2_b32 v[48:49], v24 offset0:89 offset1:113
	;; [unrolled: 1-line block ×4, first 2 shown]
	v_add_u32_e32 v25, 0x200, v24
	v_add_u32_e32 v24, 0x400, v24
	ds_read2_b32 v[34:35], v25 offset0:105 offset1:129
	ds_read2_b32 v[28:29], v24 offset0:25 offset1:49
	;; [unrolled: 1-line block ×4, first 2 shown]
	s_mov_b32 s2, 0xffff
	s_waitcnt lgkmcnt(8)
	v_lshrrev_b32_e32 v112, 16, v111
	s_waitcnt lgkmcnt(7)
	v_lshrrev_b32_e32 v117, 16, v50
	v_lshrrev_b32_e32 v119, 16, v51
	s_waitcnt lgkmcnt(6)
	v_lshrrev_b32_e32 v115, 16, v48
	;; [unrolled: 3-line block ×8, first 2 shown]
	v_bfi_b32 v33, s2, v33, v25
.LBB0_11:
	s_or_b64 exec, exec, s[0:1]
	s_waitcnt lgkmcnt(8)
	v_pk_add_f16 v71, v54, v55
	s_waitcnt lgkmcnt(7)
	v_pk_add_f16 v71, v71, v66
	v_pk_add_f16 v71, v71, v67
	s_waitcnt lgkmcnt(6)
	v_pk_add_f16 v71, v71, v62
	;; [unrolled: 3-line block ×7, first 2 shown]
	v_pk_add_f16 v71, v71, v69
	s_waitcnt lgkmcnt(0)
	v_pk_add_f16 v122, v55, v121 neg_lo:[0,1] neg_hi:[0,1]
	s_mov_b32 s4, 0xb5c8
	v_pk_add_f16 v124, v71, v121
	v_pk_add_f16 v123, v121, v55
	v_pk_mul_f16 v71, v122, s4 op_sel_hi:[1,0]
	s_movk_i32 s2, 0x3b76
	s_mov_b32 s12, 0xb964
	v_pk_add_f16 v149, v66, v69 neg_lo:[0,1] neg_hi:[0,1]
	v_pk_fma_f16 v55, v123, s2, v71 op_sel:[0,0,1] op_sel_hi:[1,0,0]
	v_pk_fma_f16 v121, v123, s2, v71 op_sel:[0,0,1] op_sel_hi:[1,0,0] neg_lo:[0,0,1] neg_hi:[0,0,1]
	s_mov_b32 s0, 0xffff
	s_movk_i32 s3, 0x39e9
	v_pk_add_f16 v148, v69, v66
	v_pk_mul_f16 v69, v149, s12 op_sel_hi:[1,0]
	v_bfi_b32 v71, s0, v55, v121
	v_pk_fma_f16 v66, v148, s3, v69 op_sel:[0,0,1] op_sel_hi:[1,0,0]
	v_pk_fma_f16 v69, v148, s3, v69 op_sel:[0,0,1] op_sel_hi:[1,0,0] neg_lo:[0,0,1] neg_hi:[0,0,1]
	v_pk_add_f16 v71, v54, v71
	v_mul_f16_sdwa v76, v122, s12 dst_sel:DWORD dst_unused:UNUSED_PAD src0_sel:WORD_1 src1_sel:DWORD
	s_mov_b32 s16, 0xbbf7
	v_bfi_b32 v150, s0, v66, v69
	v_fma_f16 v125, v123, s3, v76
	s_movk_i32 s13, 0x2de8
	v_pk_add_f16 v71, v150, v71
	v_mul_f16_sdwa v150, v149, s16 dst_sel:DWORD dst_unused:UNUSED_PAD src0_sel:WORD_1 src1_sel:DWORD
	v_add_f16_e32 v125, v54, v125
	v_mul_f16_sdwa v126, v123, s3 dst_sel:DWORD dst_unused:UNUSED_PAD src0_sel:WORD_1 src1_sel:DWORD
	s_movk_i32 s23, 0x3964
	v_fma_f16 v76, v123, s3, -v76
	v_fma_f16 v151, v148, s13, v150
	v_fma_f16 v127, v122, s23, v126
	v_add_f16_e32 v76, v54, v76
	v_fma_f16 v126, v122, s12, v126
	s_mov_b32 s14, 0xbb29
	v_add_f16_e32 v125, v151, v125
	v_mul_f16_sdwa v151, v148, s13 dst_sel:DWORD dst_unused:UNUSED_PAD src0_sel:WORD_1 src1_sel:DWORD
	v_fma_f16 v150, v148, s13, -v150
	v_add_f16_sdwa v126, v54, v126 dst_sel:DWORD dst_unused:UNUSED_PAD src0_sel:WORD_1 src1_sel:DWORD
	v_mul_f16_sdwa v128, v122, s14 dst_sel:DWORD dst_unused:UNUSED_PAD src0_sel:WORD_1 src1_sel:DWORD
	s_movk_i32 s5, 0x3722
	s_mov_b32 s21, 0xba62
	v_add_f16_e32 v76, v150, v76
	v_fma_f16 v150, v149, s16, v151
	v_fma_f16 v129, v123, s5, v128
	s_movk_i32 s29, 0x3bf7
	s_mov_b32 s17, 0xb8d2
	v_add_f16_e32 v126, v150, v126
	v_mul_f16_sdwa v150, v149, s21 dst_sel:DWORD dst_unused:UNUSED_PAD src0_sel:WORD_1 src1_sel:DWORD
	v_add_f16_e32 v129, v54, v129
	v_mul_f16_sdwa v130, v123, s5 dst_sel:DWORD dst_unused:UNUSED_PAD src0_sel:WORD_1 src1_sel:DWORD
	s_movk_i32 s19, 0x3b29
	v_fma_f16 v128, v123, s5, -v128
	v_fma_f16 v152, v149, s29, v151
	v_fma_f16 v151, v148, s17, v150
	;; [unrolled: 1-line block ×3, first 2 shown]
	v_add_f16_e32 v128, v54, v128
	v_fma_f16 v130, v122, s14, v130
	v_add_f16_e32 v129, v151, v129
	v_mul_f16_sdwa v151, v148, s17 dst_sel:DWORD dst_unused:UNUSED_PAD src0_sel:WORD_1 src1_sel:DWORD
	v_fma_f16 v150, v148, s17, -v150
	v_add_f16_sdwa v130, v54, v130 dst_sel:DWORD dst_unused:UNUSED_PAD src0_sel:WORD_1 src1_sel:DWORD
	v_mul_f16_sdwa v132, v122, s16 dst_sel:DWORD dst_unused:UNUSED_PAD src0_sel:WORD_1 src1_sel:DWORD
	v_add_f16_e32 v128, v150, v128
	v_fma_f16 v150, v149, s21, v151
	s_mov_b32 s26, 0xb1e1
	v_add_f16_sdwa v127, v54, v127 dst_sel:DWORD dst_unused:UNUSED_PAD src0_sel:WORD_1 src1_sel:DWORD
	v_fma_f16 v133, v123, s13, v132
	s_movk_i32 s28, 0x3a62
	v_add_f16_e32 v130, v150, v130
	v_mul_f16_sdwa v150, v149, s26 dst_sel:DWORD dst_unused:UNUSED_PAD src0_sel:WORD_1 src1_sel:DWORD
	s_mov_b32 s25, 0xbbdd
	v_add_f16_e32 v133, v54, v133
	v_mul_f16_sdwa v134, v123, s13 dst_sel:DWORD dst_unused:UNUSED_PAD src0_sel:WORD_1 src1_sel:DWORD
	v_fma_f16 v132, v123, s13, -v132
	v_add_f16_e32 v127, v152, v127
	v_fma_f16 v152, v149, s28, v151
	v_fma_f16 v151, v148, s25, v150
	;; [unrolled: 1-line block ×3, first 2 shown]
	v_add_f16_e32 v132, v54, v132
	v_fma_f16 v134, v122, s16, v134
	s_mov_b32 s18, 0xbbb2
	v_add_f16_e32 v133, v151, v133
	v_mul_f16_sdwa v151, v148, s25 dst_sel:DWORD dst_unused:UNUSED_PAD src0_sel:WORD_1 src1_sel:DWORD
	v_fma_f16 v150, v148, s25, -v150
	v_add_f16_sdwa v134, v54, v134 dst_sel:DWORD dst_unused:UNUSED_PAD src0_sel:WORD_1 src1_sel:DWORD
	v_mul_f16_sdwa v136, v122, s18 dst_sel:DWORD dst_unused:UNUSED_PAD src0_sel:WORD_1 src1_sel:DWORD
	s_mov_b32 s15, 0xb461
	s_movk_i32 s27, 0x3836
	v_add_f16_e32 v132, v150, v132
	v_fma_f16 v150, v149, s26, v151
	v_add_f16_sdwa v131, v54, v131 dst_sel:DWORD dst_unused:UNUSED_PAD src0_sel:WORD_1 src1_sel:DWORD
	v_fma_f16 v137, v123, s15, v136
	s_mov_b32 s20, 0xbacd
	s_movk_i32 s30, 0x31e1
	v_add_f16_e32 v134, v150, v134
	v_mul_f16_sdwa v150, v149, s27 dst_sel:DWORD dst_unused:UNUSED_PAD src0_sel:WORD_1 src1_sel:DWORD
	v_add_f16_e32 v137, v54, v137
	v_mul_f16_sdwa v138, v123, s15 dst_sel:DWORD dst_unused:UNUSED_PAD src0_sel:WORD_1 src1_sel:DWORD
	s_movk_i32 s24, 0x3bb2
	v_fma_f16 v136, v123, s15, -v136
	v_add_f16_e32 v131, v152, v131
	v_fma_f16 v152, v149, s30, v151
	v_fma_f16 v151, v148, s20, v150
	;; [unrolled: 1-line block ×3, first 2 shown]
	v_add_f16_e32 v136, v54, v136
	v_fma_f16 v138, v122, s18, v138
	v_add_f16_e32 v137, v151, v137
	v_mul_f16_sdwa v151, v148, s20 dst_sel:DWORD dst_unused:UNUSED_PAD src0_sel:WORD_1 src1_sel:DWORD
	v_fma_f16 v150, v148, s20, -v150
	v_add_f16_sdwa v138, v54, v138 dst_sel:DWORD dst_unused:UNUSED_PAD src0_sel:WORD_1 src1_sel:DWORD
	v_mul_f16_sdwa v140, v122, s21 dst_sel:DWORD dst_unused:UNUSED_PAD src0_sel:WORD_1 src1_sel:DWORD
	v_add_f16_e32 v136, v150, v136
	v_fma_f16 v150, v149, s27, v151
	v_add_f16_sdwa v135, v54, v135 dst_sel:DWORD dst_unused:UNUSED_PAD src0_sel:WORD_1 src1_sel:DWORD
	v_fma_f16 v141, v123, s17, v140
	s_mov_b32 s22, 0xb836
	v_add_f16_e32 v138, v150, v138
	v_mul_f16_sdwa v150, v149, s24 dst_sel:DWORD dst_unused:UNUSED_PAD src0_sel:WORD_1 src1_sel:DWORD
	v_add_f16_e32 v141, v54, v141
	v_mul_f16_sdwa v142, v123, s17 dst_sel:DWORD dst_unused:UNUSED_PAD src0_sel:WORD_1 src1_sel:DWORD
	v_fma_f16 v140, v123, s17, -v140
	v_add_f16_e32 v135, v152, v135
	v_fma_f16 v152, v149, s22, v151
	v_fma_f16 v151, v148, s15, v150
	v_fma_f16 v143, v122, s28, v142
	v_add_f16_e32 v140, v54, v140
	v_fma_f16 v142, v122, s21, v142
	v_add_f16_e32 v141, v151, v141
	v_mul_f16_sdwa v151, v148, s15 dst_sel:DWORD dst_unused:UNUSED_PAD src0_sel:WORD_1 src1_sel:DWORD
	v_fma_f16 v150, v148, s15, -v150
	v_add_f16_sdwa v142, v54, v142 dst_sel:DWORD dst_unused:UNUSED_PAD src0_sel:WORD_1 src1_sel:DWORD
	v_mul_f16_sdwa v144, v122, s22 dst_sel:DWORD dst_unused:UNUSED_PAD src0_sel:WORD_1 src1_sel:DWORD
	v_add_f16_e32 v140, v150, v140
	v_fma_f16 v150, v149, s24, v151
	v_add_f16_sdwa v139, v54, v139 dst_sel:DWORD dst_unused:UNUSED_PAD src0_sel:WORD_1 src1_sel:DWORD
	v_fma_f16 v145, v123, s20, v144
	v_add_f16_e32 v142, v150, v142
	v_mul_f16_sdwa v150, v149, s19 dst_sel:DWORD dst_unused:UNUSED_PAD src0_sel:WORD_1 src1_sel:DWORD
	v_add_f16_e32 v145, v54, v145
	v_mul_f16_sdwa v146, v123, s20 dst_sel:DWORD dst_unused:UNUSED_PAD src0_sel:WORD_1 src1_sel:DWORD
	v_fma_f16 v144, v123, s20, -v144
	v_add_f16_e32 v139, v152, v139
	v_fma_f16 v152, v149, s18, v151
	v_fma_f16 v151, v148, s5, v150
	v_fma_f16 v147, v122, s27, v146
	v_add_f16_e32 v144, v54, v144
	v_fma_f16 v146, v122, s22, v146
	v_add_f16_e32 v145, v151, v145
	v_mul_f16_sdwa v151, v148, s5 dst_sel:DWORD dst_unused:UNUSED_PAD src0_sel:WORD_1 src1_sel:DWORD
	v_fma_f16 v150, v148, s5, -v150
	v_add_f16_sdwa v146, v54, v146 dst_sel:DWORD dst_unused:UNUSED_PAD src0_sel:WORD_1 src1_sel:DWORD
	v_add_f16_e32 v144, v150, v144
	v_fma_f16 v150, v149, s19, v151
	v_add_f16_e32 v146, v150, v146
	v_pk_add_f16 v150, v68, v67
	v_pk_add_f16 v67, v67, v68 neg_lo:[0,1] neg_hi:[0,1]
	v_add_f16_sdwa v143, v54, v143 dst_sel:DWORD dst_unused:UNUSED_PAD src0_sel:WORD_1 src1_sel:DWORD
	v_pk_mul_f16 v68, v67, s14 op_sel_hi:[1,0]
	v_add_f16_sdwa v147, v54, v147 dst_sel:DWORD dst_unused:UNUSED_PAD src0_sel:WORD_1 src1_sel:DWORD
	v_add_f16_e32 v143, v152, v143
	v_fma_f16 v152, v149, s14, v151
	v_pk_fma_f16 v151, v150, s5, v68 op_sel:[0,0,1] op_sel_hi:[1,0,0]
	v_pk_fma_f16 v68, v150, s5, v68 op_sel:[0,0,1] op_sel_hi:[1,0,0] neg_lo:[0,0,1] neg_hi:[0,0,1]
	v_add_f16_e32 v147, v152, v147
	v_bfi_b32 v152, s0, v151, v68
	v_pk_add_f16 v71, v152, v71
	v_mul_f16_sdwa v152, v67, s21 dst_sel:DWORD dst_unused:UNUSED_PAD src0_sel:WORD_1 src1_sel:DWORD
	v_fma_f16 v153, v150, s17, v152
	v_add_f16_e32 v125, v153, v125
	v_mul_f16_sdwa v153, v150, s17 dst_sel:DWORD dst_unused:UNUSED_PAD src0_sel:WORD_1 src1_sel:DWORD
	v_fma_f16 v152, v150, s17, -v152
	v_add_f16_e32 v76, v152, v76
	v_fma_f16 v152, v67, s21, v153
	v_add_f16_e32 v126, v152, v126
	v_mul_f16_sdwa v152, v67, s30 dst_sel:DWORD dst_unused:UNUSED_PAD src0_sel:WORD_1 src1_sel:DWORD
	v_fma_f16 v154, v67, s28, v153
	v_fma_f16 v153, v150, s25, v152
	v_add_f16_e32 v129, v153, v129
	v_mul_f16_sdwa v153, v150, s25 dst_sel:DWORD dst_unused:UNUSED_PAD src0_sel:WORD_1 src1_sel:DWORD
	v_fma_f16 v152, v150, s25, -v152
	v_add_f16_e32 v128, v152, v128
	v_fma_f16 v152, v67, s30, v153
	v_add_f16_e32 v130, v152, v130
	v_mul_f16_sdwa v152, v67, s24 dst_sel:DWORD dst_unused:UNUSED_PAD src0_sel:WORD_1 src1_sel:DWORD
	v_add_f16_e32 v127, v154, v127
	v_fma_f16 v154, v67, s26, v153
	v_fma_f16 v153, v150, s15, v152
	v_add_f16_e32 v133, v153, v133
	v_mul_f16_sdwa v153, v150, s15 dst_sel:DWORD dst_unused:UNUSED_PAD src0_sel:WORD_1 src1_sel:DWORD
	v_fma_f16 v152, v150, s15, -v152
	v_add_f16_e32 v132, v152, v132
	v_fma_f16 v152, v67, s24, v153
	v_add_f16_e32 v134, v152, v134
	v_mul_f16_sdwa v152, v67, s23 dst_sel:DWORD dst_unused:UNUSED_PAD src0_sel:WORD_1 src1_sel:DWORD
	v_add_f16_e32 v131, v154, v131
	v_fma_f16 v154, v67, s18, v153
	v_fma_f16 v153, v150, s3, v152
	v_add_f16_e32 v137, v153, v137
	v_mul_f16_sdwa v153, v150, s3 dst_sel:DWORD dst_unused:UNUSED_PAD src0_sel:WORD_1 src1_sel:DWORD
	v_fma_f16 v152, v150, s3, -v152
	v_add_f16_e32 v136, v152, v136
	v_fma_f16 v152, v67, s23, v153
	v_add_f16_e32 v138, v152, v138
	v_mul_f16_sdwa v152, v67, s4 dst_sel:DWORD dst_unused:UNUSED_PAD src0_sel:WORD_1 src1_sel:DWORD
	v_add_f16_e32 v135, v154, v135
	v_fma_f16 v154, v67, s12, v153
	v_fma_f16 v153, v150, s2, v152
	v_add_f16_e32 v141, v153, v141
	v_mul_f16_sdwa v153, v150, s2 dst_sel:DWORD dst_unused:UNUSED_PAD src0_sel:WORD_1 src1_sel:DWORD
	v_fma_f16 v152, v150, s2, -v152
	v_add_f16_e32 v140, v152, v140
	v_fma_f16 v152, v67, s4, v153
	v_add_f16_e32 v142, v152, v142
	v_mul_f16_sdwa v152, v67, s16 dst_sel:DWORD dst_unused:UNUSED_PAD src0_sel:WORD_1 src1_sel:DWORD
	v_add_f16_e32 v139, v154, v139
	v_fma_f16 v154, v67, s31, v153
	v_fma_f16 v153, v150, s13, v152
	v_add_f16_e32 v145, v153, v145
	v_mul_f16_sdwa v153, v150, s13 dst_sel:DWORD dst_unused:UNUSED_PAD src0_sel:WORD_1 src1_sel:DWORD
	v_fma_f16 v152, v150, s13, -v152
	v_add_f16_e32 v144, v152, v144
	v_fma_f16 v152, v67, s16, v153
	v_add_f16_e32 v146, v152, v146
	v_pk_add_f16 v152, v65, v62
	v_pk_add_f16 v62, v62, v65 neg_lo:[0,1] neg_hi:[0,1]
	v_pk_mul_f16 v65, v62, s16 op_sel_hi:[1,0]
	v_add_f16_e32 v143, v154, v143
	v_fma_f16 v154, v67, s29, v153
	v_pk_fma_f16 v153, v152, s13, v65 op_sel:[0,0,1] op_sel_hi:[1,0,0]
	v_pk_fma_f16 v65, v152, s13, v65 op_sel:[0,0,1] op_sel_hi:[1,0,0] neg_lo:[0,0,1] neg_hi:[0,0,1]
	v_add_f16_e32 v147, v154, v147
	v_bfi_b32 v154, s0, v153, v65
	v_pk_add_f16 v71, v154, v71
	v_mul_f16_sdwa v154, v62, s26 dst_sel:DWORD dst_unused:UNUSED_PAD src0_sel:WORD_1 src1_sel:DWORD
	v_fma_f16 v155, v152, s25, v154
	v_add_f16_e32 v125, v155, v125
	v_mul_f16_sdwa v155, v152, s25 dst_sel:DWORD dst_unused:UNUSED_PAD src0_sel:WORD_1 src1_sel:DWORD
	v_fma_f16 v154, v152, s25, -v154
	v_add_f16_e32 v76, v154, v76
	v_fma_f16 v154, v62, s26, v155
	v_add_f16_e32 v126, v154, v126
	v_mul_f16_sdwa v154, v62, s24 dst_sel:DWORD dst_unused:UNUSED_PAD src0_sel:WORD_1 src1_sel:DWORD
	v_fma_f16 v156, v62, s30, v155
	v_fma_f16 v155, v152, s15, v154
	v_add_f16_e32 v129, v155, v129
	v_mul_f16_sdwa v155, v152, s15 dst_sel:DWORD dst_unused:UNUSED_PAD src0_sel:WORD_1 src1_sel:DWORD
	v_fma_f16 v154, v152, s15, -v154
	v_add_f16_e32 v128, v154, v128
	v_fma_f16 v154, v62, s24, v155
	v_add_f16_e32 v130, v154, v130
	v_mul_f16_sdwa v154, v62, s31 dst_sel:DWORD dst_unused:UNUSED_PAD src0_sel:WORD_1 src1_sel:DWORD
	v_add_f16_e32 v127, v156, v127
	v_fma_f16 v156, v62, s18, v155
	v_fma_f16 v155, v152, s2, v154
	v_add_f16_e32 v133, v155, v133
	v_mul_f16_sdwa v155, v152, s2 dst_sel:DWORD dst_unused:UNUSED_PAD src0_sel:WORD_1 src1_sel:DWORD
	v_fma_f16 v154, v152, s2, -v154
	v_add_f16_e32 v132, v154, v132
	v_fma_f16 v154, v62, s31, v155
	v_add_f16_e32 v134, v154, v134
	v_mul_f16_sdwa v154, v62, s14 dst_sel:DWORD dst_unused:UNUSED_PAD src0_sel:WORD_1 src1_sel:DWORD
	v_add_f16_e32 v131, v156, v131
	;; [unrolled: 10-line block ×4, first 2 shown]
	v_fma_f16 v156, v62, s27, v155
	v_fma_f16 v155, v152, s17, v154
	v_add_f16_e32 v145, v155, v145
	v_mul_f16_sdwa v155, v152, s17 dst_sel:DWORD dst_unused:UNUSED_PAD src0_sel:WORD_1 src1_sel:DWORD
	v_fma_f16 v154, v152, s17, -v154
	v_add_f16_e32 v144, v154, v144
	v_fma_f16 v154, v62, s28, v155
	v_add_f16_e32 v146, v154, v146
	v_pk_add_f16 v154, v64, v63
	v_pk_add_f16 v63, v63, v64 neg_lo:[0,1] neg_hi:[0,1]
	v_pk_mul_f16 v64, v63, s18 op_sel_hi:[1,0]
	v_add_f16_e32 v143, v156, v143
	v_fma_f16 v156, v62, s21, v155
	v_pk_fma_f16 v155, v154, s15, v64 op_sel:[0,0,1] op_sel_hi:[1,0,0]
	v_pk_fma_f16 v64, v154, s15, v64 op_sel:[0,0,1] op_sel_hi:[1,0,0] neg_lo:[0,0,1] neg_hi:[0,0,1]
	v_add_f16_e32 v147, v156, v147
	v_bfi_b32 v156, s0, v155, v64
	v_pk_add_f16 v71, v156, v71
	v_mul_f16_sdwa v156, v63, s27 dst_sel:DWORD dst_unused:UNUSED_PAD src0_sel:WORD_1 src1_sel:DWORD
	v_fma_f16 v157, v154, s20, v156
	v_add_f16_e32 v125, v157, v125
	v_mul_f16_sdwa v157, v154, s20 dst_sel:DWORD dst_unused:UNUSED_PAD src0_sel:WORD_1 src1_sel:DWORD
	v_fma_f16 v156, v154, s20, -v156
	v_add_f16_e32 v76, v156, v76
	v_fma_f16 v156, v63, s27, v157
	v_add_f16_e32 v126, v156, v126
	v_mul_f16_sdwa v156, v63, s23 dst_sel:DWORD dst_unused:UNUSED_PAD src0_sel:WORD_1 src1_sel:DWORD
	v_fma_f16 v158, v63, s22, v157
	v_fma_f16 v157, v154, s3, v156
	v_add_f16_e32 v129, v157, v129
	v_mul_f16_sdwa v157, v154, s3 dst_sel:DWORD dst_unused:UNUSED_PAD src0_sel:WORD_1 src1_sel:DWORD
	v_fma_f16 v156, v154, s3, -v156
	v_add_f16_e32 v128, v156, v128
	v_fma_f16 v156, v63, s23, v157
	v_add_f16_e32 v130, v156, v130
	v_mul_f16_sdwa v156, v63, s14 dst_sel:DWORD dst_unused:UNUSED_PAD src0_sel:WORD_1 src1_sel:DWORD
	v_add_f16_e32 v127, v158, v127
	v_fma_f16 v158, v63, s12, v157
	v_fma_f16 v157, v154, s5, v156
	v_add_f16_e32 v133, v157, v133
	v_mul_f16_sdwa v157, v154, s5 dst_sel:DWORD dst_unused:UNUSED_PAD src0_sel:WORD_1 src1_sel:DWORD
	v_fma_f16 v156, v154, s5, -v156
	v_add_f16_e32 v132, v156, v132
	v_fma_f16 v156, v63, s14, v157
	v_add_f16_e32 v134, v156, v134
	v_mul_f16_sdwa v156, v63, s26 dst_sel:DWORD dst_unused:UNUSED_PAD src0_sel:WORD_1 src1_sel:DWORD
	v_add_f16_e32 v131, v158, v131
	;; [unrolled: 10-line block ×4, first 2 shown]
	v_fma_f16 v158, v63, s16, v157
	v_fma_f16 v157, v154, s2, v156
	v_add_f16_e32 v145, v157, v145
	v_mul_f16_sdwa v157, v154, s2 dst_sel:DWORD dst_unused:UNUSED_PAD src0_sel:WORD_1 src1_sel:DWORD
	v_fma_f16 v156, v154, s2, -v156
	v_add_f16_e32 v144, v156, v144
	v_fma_f16 v156, v63, s4, v157
	v_add_f16_e32 v146, v156, v146
	v_pk_add_f16 v156, v61, v58
	v_pk_add_f16 v58, v58, v61 neg_lo:[0,1] neg_hi:[0,1]
	v_pk_mul_f16 v61, v58, s21 op_sel_hi:[1,0]
	v_add_f16_e32 v143, v158, v143
	v_fma_f16 v158, v63, s31, v157
	v_pk_fma_f16 v157, v156, s17, v61 op_sel:[0,0,1] op_sel_hi:[1,0,0]
	v_pk_fma_f16 v61, v156, s17, v61 op_sel:[0,0,1] op_sel_hi:[1,0,0] neg_lo:[0,0,1] neg_hi:[0,0,1]
	v_add_f16_e32 v147, v158, v147
	v_bfi_b32 v158, s0, v157, v61
	v_pk_add_f16 v71, v158, v71
	v_mul_f16_sdwa v158, v58, s24 dst_sel:DWORD dst_unused:UNUSED_PAD src0_sel:WORD_1 src1_sel:DWORD
	v_fma_f16 v159, v156, s15, v158
	v_add_f16_e32 v125, v159, v125
	v_mul_f16_sdwa v159, v156, s15 dst_sel:DWORD dst_unused:UNUSED_PAD src0_sel:WORD_1 src1_sel:DWORD
	v_fma_f16 v158, v156, s15, -v158
	v_add_f16_e32 v76, v158, v76
	v_fma_f16 v158, v58, s24, v159
	v_add_f16_e32 v126, v158, v126
	v_mul_f16_sdwa v158, v58, s4 dst_sel:DWORD dst_unused:UNUSED_PAD src0_sel:WORD_1 src1_sel:DWORD
	v_fma_f16 v160, v58, s18, v159
	v_fma_f16 v159, v156, s2, v158
	v_add_f16_e32 v129, v159, v129
	v_mul_f16_sdwa v159, v156, s2 dst_sel:DWORD dst_unused:UNUSED_PAD src0_sel:WORD_1 src1_sel:DWORD
	v_fma_f16 v158, v156, s2, -v158
	v_add_f16_e32 v128, v158, v128
	v_fma_f16 v158, v58, s4, v159
	v_add_f16_e32 v130, v158, v130
	v_mul_f16_sdwa v158, v58, s22 dst_sel:DWORD dst_unused:UNUSED_PAD src0_sel:WORD_1 src1_sel:DWORD
	v_add_f16_e32 v127, v160, v127
	v_fma_f16 v160, v58, s31, v159
	v_fma_f16 v159, v156, s20, v158
	v_add_f16_e32 v133, v159, v133
	v_mul_f16_sdwa v159, v156, s20 dst_sel:DWORD dst_unused:UNUSED_PAD src0_sel:WORD_1 src1_sel:DWORD
	v_fma_f16 v158, v156, s20, -v158
	v_add_f16_e32 v132, v158, v132
	v_fma_f16 v158, v58, s22, v159
	v_add_f16_e32 v134, v158, v134
	v_mul_f16_sdwa v158, v58, s29 dst_sel:DWORD dst_unused:UNUSED_PAD src0_sel:WORD_1 src1_sel:DWORD
	v_add_f16_e32 v131, v160, v131
	;; [unrolled: 10-line block ×4, first 2 shown]
	v_fma_f16 v160, v58, s23, v159
	v_fma_f16 v159, v156, s25, v158
	v_add_f16_e32 v145, v159, v145
	v_mul_f16_sdwa v159, v156, s25 dst_sel:DWORD dst_unused:UNUSED_PAD src0_sel:WORD_1 src1_sel:DWORD
	v_fma_f16 v158, v156, s25, -v158
	v_add_f16_e32 v144, v158, v144
	v_fma_f16 v158, v58, s26, v159
	v_add_f16_e32 v146, v158, v146
	v_pk_add_f16 v158, v60, v59
	v_pk_add_f16 v59, v59, v60 neg_lo:[0,1] neg_hi:[0,1]
	v_pk_mul_f16 v60, v59, s22 op_sel_hi:[1,0]
	v_add_f16_e32 v143, v160, v143
	v_fma_f16 v160, v58, s30, v159
	v_pk_fma_f16 v159, v158, s20, v60 op_sel:[0,0,1] op_sel_hi:[1,0,0]
	v_pk_fma_f16 v60, v158, s20, v60 op_sel:[0,0,1] op_sel_hi:[1,0,0] neg_lo:[0,0,1] neg_hi:[0,0,1]
	v_add_f16_e32 v147, v160, v147
	v_bfi_b32 v160, s0, v159, v60
	v_pk_add_f16 v71, v160, v71
	v_mul_f16_sdwa v160, v59, s19 dst_sel:DWORD dst_unused:UNUSED_PAD src0_sel:WORD_1 src1_sel:DWORD
	v_fma_f16 v161, v158, s5, v160
	v_add_f16_e32 v125, v161, v125
	v_mul_f16_sdwa v161, v158, s5 dst_sel:DWORD dst_unused:UNUSED_PAD src0_sel:WORD_1 src1_sel:DWORD
	v_fma_f16 v160, v158, s5, -v160
	v_add_f16_e32 v76, v160, v76
	v_fma_f16 v160, v59, s19, v161
	v_add_f16_e32 v126, v160, v126
	v_mul_f16_sdwa v160, v59, s16 dst_sel:DWORD dst_unused:UNUSED_PAD src0_sel:WORD_1 src1_sel:DWORD
	v_fma_f16 v162, v59, s14, v161
	v_fma_f16 v161, v158, s13, v160
	v_add_f16_e32 v129, v161, v129
	v_mul_f16_sdwa v161, v158, s13 dst_sel:DWORD dst_unused:UNUSED_PAD src0_sel:WORD_1 src1_sel:DWORD
	v_fma_f16 v160, v158, s13, -v160
	v_add_f16_e32 v128, v160, v128
	v_fma_f16 v160, v59, s16, v161
	v_add_f16_e32 v130, v160, v130
	v_mul_f16_sdwa v160, v59, s28 dst_sel:DWORD dst_unused:UNUSED_PAD src0_sel:WORD_1 src1_sel:DWORD
	v_add_f16_e32 v127, v162, v127
	v_fma_f16 v162, v59, s29, v161
	v_fma_f16 v161, v158, s17, v160
	v_add_f16_e32 v133, v161, v133
	v_mul_f16_sdwa v161, v158, s17 dst_sel:DWORD dst_unused:UNUSED_PAD src0_sel:WORD_1 src1_sel:DWORD
	v_fma_f16 v160, v158, s17, -v160
	v_add_f16_e32 v132, v160, v132
	v_fma_f16 v160, v59, s28, v161
	v_add_f16_e32 v134, v160, v134
	v_mul_f16_sdwa v160, v59, s4 dst_sel:DWORD dst_unused:UNUSED_PAD src0_sel:WORD_1 src1_sel:DWORD
	v_add_f16_e32 v131, v162, v131
	;; [unrolled: 10-line block ×4, first 2 shown]
	v_fma_f16 v162, v59, s30, v161
	v_fma_f16 v161, v158, s3, v160
	v_add_f16_e32 v145, v161, v145
	v_mul_f16_sdwa v161, v158, s3 dst_sel:DWORD dst_unused:UNUSED_PAD src0_sel:WORD_1 src1_sel:DWORD
	v_fma_f16 v160, v158, s3, -v160
	v_add_f16_e32 v144, v160, v144
	v_fma_f16 v160, v59, s23, v161
	v_add_f16_e32 v146, v160, v146
	v_pk_add_f16 v160, v57, v56
	v_pk_add_f16 v56, v56, v57 neg_lo:[0,1] neg_hi:[0,1]
	v_pk_mul_f16 v57, v56, s26 op_sel_hi:[1,0]
	v_add_f16_e32 v143, v162, v143
	v_fma_f16 v162, v59, s12, v161
	v_pk_fma_f16 v161, v160, s25, v57 op_sel:[0,0,1] op_sel_hi:[1,0,0]
	v_pk_fma_f16 v57, v160, s25, v57 op_sel:[0,0,1] op_sel_hi:[1,0,0] neg_lo:[0,0,1] neg_hi:[0,0,1]
	v_add_f16_e32 v147, v162, v147
	v_bfi_b32 v162, s0, v161, v57
	v_pk_add_f16 v71, v162, v71
	v_mul_f16_sdwa v162, v56, s31 dst_sel:DWORD dst_unused:UNUSED_PAD src0_sel:WORD_1 src1_sel:DWORD
	v_fma_f16 v163, v160, s2, v162
	v_add_f16_e32 v125, v163, v125
	v_mul_f16_sdwa v163, v160, s2 dst_sel:DWORD dst_unused:UNUSED_PAD src0_sel:WORD_1 src1_sel:DWORD
	v_fma_f16 v162, v160, s2, -v162
	v_add_f16_e32 v76, v162, v76
	v_fma_f16 v162, v56, s31, v163
	v_add_f16_e32 v126, v162, v126
	v_mul_f16_sdwa v162, v56, s22 dst_sel:DWORD dst_unused:UNUSED_PAD src0_sel:WORD_1 src1_sel:DWORD
	v_fma_f16 v164, v56, s4, v163
	v_fma_f16 v163, v160, s20, v162
	v_add_f16_e32 v129, v163, v129
	v_mul_f16_sdwa v163, v160, s20 dst_sel:DWORD dst_unused:UNUSED_PAD src0_sel:WORD_1 src1_sel:DWORD
	v_fma_f16 v162, v160, s20, -v162
	v_add_f16_e32 v128, v162, v128
	v_fma_f16 v162, v56, s22, v163
	v_add_f16_e32 v130, v162, v130
	v_mul_f16_sdwa v162, v56, s23 dst_sel:DWORD dst_unused:UNUSED_PAD src0_sel:WORD_1 src1_sel:DWORD
	v_add_f16_e32 v127, v164, v127
	v_fma_f16 v164, v56, s27, v163
	v_fma_f16 v163, v160, s3, v162
	v_add_f16_e32 v133, v163, v133
	v_mul_f16_sdwa v163, v160, s3 dst_sel:DWORD dst_unused:UNUSED_PAD src0_sel:WORD_1 src1_sel:DWORD
	v_fma_f16 v162, v160, s3, -v162
	v_add_f16_e32 v132, v162, v132
	v_fma_f16 v162, v56, s23, v163
	v_add_f16_e32 v134, v162, v134
	v_mul_f16_sdwa v162, v56, s21 dst_sel:DWORD dst_unused:UNUSED_PAD src0_sel:WORD_1 src1_sel:DWORD
	v_add_f16_e32 v131, v164, v131
	;; [unrolled: 10-line block ×4, first 2 shown]
	v_fma_f16 v164, v56, s14, v163
	v_fma_f16 v163, v160, s15, v162
	v_add_f16_e32 v145, v163, v145
	v_mul_f16_sdwa v163, v160, s15 dst_sel:DWORD dst_unused:UNUSED_PAD src0_sel:WORD_1 src1_sel:DWORD
	s_waitcnt lgkmcnt(0)
	; wave barrier
	v_add_f16_e32 v143, v164, v143
	v_fma_f16 v164, v56, s24, v163
	ds_write2_b32 v94, v124, v71 offset1:1
	v_pack_b32_f16 v71, v129, v131
	v_pack_b32_f16 v124, v125, v127
	v_add_f16_e32 v147, v164, v147
	ds_write2_b32 v94, v124, v71 offset0:2 offset1:3
	v_pack_b32_f16 v71, v137, v139
	v_pack_b32_f16 v124, v133, v135
	ds_write2_b32 v94, v124, v71 offset0:4 offset1:5
	v_pack_b32_f16 v71, v145, v147
	v_pack_b32_f16 v124, v141, v143
	ds_write2_b32 v94, v124, v71 offset0:6 offset1:7
	v_pk_mul_f16 v71, v123, s25 op_sel_hi:[1,0]
	v_pk_fma_f16 v123, v122, s26, v71 op_sel:[0,0,1] op_sel_hi:[1,0,0]
	v_pk_fma_f16 v71, v122, s26, v71 op_sel:[0,0,1] op_sel_hi:[1,0,0] neg_lo:[1,0,0] neg_hi:[1,0,0]
	v_alignbit_b32 v122, s0, v54, 16
	v_alignbit_b32 v124, s0, v123, 16
	v_pk_add_f16 v122, v122, v123
	v_pk_mul_f16 v123, v148, s2 op_sel_hi:[1,0]
	v_pk_add_f16 v71, v54, v71 op_sel:[1,0] op_sel_hi:[0,1]
	v_pk_fma_f16 v125, v149, s31, v123 op_sel:[0,0,1] op_sel_hi:[1,0,0]
	v_pk_fma_f16 v123, v149, s31, v123 op_sel:[0,0,1] op_sel_hi:[1,0,0] neg_lo:[1,0,0] neg_hi:[1,0,0]
	v_pk_add_f16 v71, v123, v71
	v_pk_mul_f16 v123, v150, s20 op_sel_hi:[1,0]
	v_alignbit_b32 v127, s0, v125, 16
	v_pk_add_f16 v122, v125, v122
	v_pk_fma_f16 v125, v67, s22, v123 op_sel:[0,0,1] op_sel_hi:[1,0,0]
	v_pk_fma_f16 v67, v67, s22, v123 op_sel:[0,0,1] op_sel_hi:[1,0,0] neg_lo:[1,0,0] neg_hi:[1,0,0]
	v_pk_add_f16 v67, v67, v71
	v_pk_add_f16 v71, v125, v122
	v_pk_mul_f16 v122, v152, s3 op_sel_hi:[1,0]
	v_pk_fma_f16 v123, v62, s23, v122 op_sel:[0,0,1] op_sel_hi:[1,0,0]
	v_pk_fma_f16 v62, v62, s23, v122 op_sel:[0,0,1] op_sel_hi:[1,0,0] neg_lo:[1,0,0] neg_hi:[1,0,0]
	v_pk_add_f16 v62, v62, v67
	v_pk_add_f16 v67, v123, v71
	v_pk_mul_f16 v71, v154, s17 op_sel_hi:[1,0]
	v_pk_fma_f16 v122, v63, s21, v71 op_sel:[0,0,1] op_sel_hi:[1,0,0]
	v_pk_fma_f16 v63, v63, s21, v71 op_sel:[0,0,1] op_sel_hi:[1,0,0] neg_lo:[1,0,0] neg_hi:[1,0,0]
	v_pk_add_f16 v124, v54, v124
	v_pk_add_f16 v62, v63, v62
	;; [unrolled: 1-line block ×3, first 2 shown]
	v_pk_mul_f16 v67, v156, s5 op_sel_hi:[1,0]
	v_pk_add_f16 v124, v127, v124
	v_alignbit_b32 v127, s0, v125, 16
	v_pk_fma_f16 v71, v58, s19, v67 op_sel:[0,0,1] op_sel_hi:[1,0,0]
	v_pk_fma_f16 v58, v58, s19, v67 op_sel:[0,0,1] op_sel_hi:[1,0,0] neg_lo:[1,0,0] neg_hi:[1,0,0]
	v_pk_add_f16 v124, v127, v124
	v_alignbit_b32 v125, s0, v123, 16
	v_pk_add_f16 v58, v58, v62
	v_pk_add_f16 v62, v71, v63
	v_pk_mul_f16 v63, v158, s15 op_sel_hi:[1,0]
	v_pk_add_f16 v124, v125, v124
	v_alignbit_b32 v123, s0, v122, 16
	v_pk_fma_f16 v67, v59, s18, v63 op_sel:[0,0,1] op_sel_hi:[1,0,0]
	v_pk_fma_f16 v59, v59, s18, v63 op_sel:[0,0,1] op_sel_hi:[1,0,0] neg_lo:[1,0,0] neg_hi:[1,0,0]
	v_bfi_b32 v55, s0, v121, v55
	v_pk_add_f16 v123, v123, v124
	v_alignbit_b32 v122, s0, v71, 16
	v_pk_add_f16 v58, v59, v58
	v_pk_add_f16 v59, v67, v62
	v_pk_mul_f16 v62, v160, s13 op_sel_hi:[1,0]
	v_pk_add_f16 v54, v54, v55
	v_bfi_b32 v55, s0, v69, v66
	v_fma_f16 v162, v160, s15, -v162
	v_pk_add_f16 v122, v122, v123
	v_alignbit_b32 v71, s0, v67, 16
	v_pk_fma_f16 v63, v56, s29, v62 op_sel:[0,0,1] op_sel_hi:[1,0,0]
	v_pk_add_f16 v54, v55, v54
	v_bfi_b32 v55, s0, v68, v151
	v_add_f16_e32 v144, v162, v144
	v_fma_f16 v162, v56, s18, v163
	v_pk_add_f16 v71, v71, v122
	v_alignbit_b32 v67, s0, v63, 16
	v_pk_fma_f16 v56, v56, s29, v62 op_sel:[0,0,1] op_sel_hi:[1,0,0] neg_lo:[1,0,0] neg_hi:[1,0,0]
	v_pk_add_f16 v54, v55, v54
	v_bfi_b32 v55, s0, v65, v153
	v_pk_add_f16 v67, v67, v71
	v_pk_add_f16 v56, v56, v58
	;; [unrolled: 1-line block ×4, first 2 shown]
	v_bfi_b32 v55, s0, v64, v155
	v_add_f16_e32 v146, v162, v146
	v_alignbit_b32 v58, v58, v56, 16
	v_pack_b32_f16 v56, v67, v56
	v_pk_add_f16 v54, v55, v54
	v_bfi_b32 v55, s0, v61, v157
	ds_write2_b32 v94, v56, v58 offset0:8 offset1:9
	v_pack_b32_f16 v56, v140, v142
	v_pack_b32_f16 v58, v144, v146
	v_pk_add_f16 v54, v55, v54
	v_bfi_b32 v55, s0, v60, v159
	ds_write2_b32 v94, v58, v56 offset0:10 offset1:11
	v_pack_b32_f16 v56, v132, v134
	v_pack_b32_f16 v58, v136, v138
	v_pk_add_f16 v54, v55, v54
	v_bfi_b32 v55, s0, v57, v161
	v_add_u32_e32 v114, 0x44, v113
	v_add_u32_e32 v113, 0x88, v113
	ds_write2_b32 v94, v58, v56 offset0:12 offset1:13
	v_pack_b32_f16 v56, v76, v126
	v_pack_b32_f16 v58, v128, v130
	v_pk_add_f16 v54, v55, v54
	ds_write2_b32 v94, v58, v56 offset0:14 offset1:15
	ds_write_b32 v94, v54 offset:64
	s_and_saveexec_b64 s[0:1], vcc
	s_cbranch_execz .LBB0_13
; %bb.12:
	v_add_f16_sdwa v71, v33, v117 dst_sel:DWORD dst_unused:UNUSED_PAD src0_sel:WORD_1 src1_sel:DWORD
	v_mul_f16_e32 v76, 0xbbdd, v71
	v_sub_f16_e32 v55, v50, v25
	v_add_f16_e32 v126, v96, v119
	v_fma_f16 v54, v55, s30, v76
	v_mul_f16_e32 v127, 0x3b76, v126
	v_sub_f16_e32 v56, v51, v24
	v_add_f16_e32 v54, v112, v54
	v_fma_f16 v57, v56, s4, v127
	v_add_f16_e32 v128, v97, v115
	v_add_f16_e32 v54, v57, v54
	v_mul_f16_e32 v129, 0xbacd, v128
	v_sub_f16_e32 v57, v48, v27
	v_fma_f16 v58, v57, s27, v129
	v_add_f16_e32 v130, v98, v116
	v_add_f16_e32 v54, v58, v54
	v_mul_f16_e32 v131, 0x39e9, v130
	v_sub_f16_e32 v58, v49, v26
	v_fma_f16 v59, v58, s12, v131
	v_add_f16_e32 v132, v99, v118
	v_add_f16_e32 v54, v59, v54
	v_mul_f16_e32 v133, 0xb8d2, v132
	v_sub_f16_e32 v59, v52, v29
	v_fma_f16 v60, v59, s28, v133
	v_add_f16_e32 v134, v102, v120
	v_add_f16_e32 v54, v60, v54
	v_mul_f16_e32 v135, 0x3722, v134
	v_sub_f16_e32 v60, v53, v28
	v_fma_f16 v61, v60, s14, v135
	v_add_f16_e32 v136, v100, v93
	v_add_f16_e32 v54, v61, v54
	v_mul_f16_e32 v137, 0xb461, v136
	v_sub_f16_e32 v61, v32, v35
	v_fma_f16 v62, v61, s24, v137
	v_add_f16_e32 v138, v95, v101
	v_add_f16_e32 v54, v62, v54
	v_mul_f16_e32 v139, 0x2de8, v138
	v_sub_f16_e32 v62, v33, v34
	v_fma_f16 v63, v62, s16, v139
	v_sub_f16_sdwa v140, v117, v33 dst_sel:DWORD dst_unused:UNUSED_PAD src0_sel:DWORD src1_sel:WORD_1
	v_add_f16_e32 v54, v63, v54
	v_add_f16_e32 v63, v25, v50
	v_mul_f16_e32 v141, 0xb1e1, v140
	v_fma_f16 v64, v63, s25, v141
	v_sub_f16_e32 v142, v119, v96
	v_add_f16_e32 v65, v111, v64
	v_add_f16_e32 v64, v24, v51
	v_mul_f16_e32 v143, 0x35c8, v142
	v_fma_f16 v66, v64, s2, v143
	v_sub_f16_e32 v144, v115, v97
	;; [unrolled: 5-line block ×7, first 2 shown]
	v_add_f16_e32 v67, v121, v67
	v_add_f16_e32 v121, v34, v33
	v_mul_f16_e32 v155, 0x3bf7, v154
	v_fma_f16 v122, v121, s13, v155
	v_mul_f16_e32 v156, 0xbacd, v71
	buffer_store_dword v54, off, s[40:43], 0 offset:16 ; 4-byte Folded Spill
	v_add_f16_e32 v54, v122, v67
	v_fma_f16 v122, v55, s27, v156
	v_mul_f16_e32 v157, 0x3722, v126
	v_add_f16_e32 v122, v112, v122
	v_fma_f16 v123, v56, s14, v157
	v_mul_f16_e32 v158, 0x2de8, v128
	v_add_f16_e32 v122, v123, v122
	v_fma_f16 v123, v57, s29, v158
	v_mul_f16_e32 v159, 0xb8d2, v130
	v_add_f16_e32 v122, v123, v122
	v_fma_f16 v123, v58, s21, v159
	v_mul_f16_e32 v160, 0x3b76, v132
	v_add_f16_e32 v122, v123, v122
	v_fma_f16 v123, v59, s31, v160
	v_mul_f16_e32 v161, 0xbbdd, v134
	v_add_f16_e32 v122, v123, v122
	v_fma_f16 v123, v60, s30, v161
	v_mul_f16_e32 v162, 0x39e9, v136
	v_add_f16_e32 v122, v123, v122
	v_fma_f16 v123, v61, s12, v162
	v_mul_f16_e32 v163, 0xb461, v138
	v_add_f16_e32 v122, v123, v122
	v_fma_f16 v123, v62, s24, v163
	v_mul_f16_e32 v164, 0xb836, v140
	buffer_store_dword v54, off, s[40:43], 0 offset:20 ; 4-byte Folded Spill
	v_add_f16_e32 v54, v123, v122
	v_fma_f16 v123, v63, s20, v164
	v_mul_f16_e32 v165, 0x3b29, v142
	v_add_f16_e32 v123, v111, v123
	v_fma_f16 v124, v64, s5, v165
	v_mul_f16_e32 v166, 0xbbf7, v144
	v_add_f16_e32 v123, v124, v123
	v_fma_f16 v124, v65, s13, v166
	v_mul_f16_e32 v167, 0x3a62, v146
	v_add_f16_e32 v123, v124, v123
	v_fma_f16 v124, v66, s17, v167
	v_mul_f16_e32 v168, 0xb5c8, v148
	v_add_f16_e32 v123, v124, v123
	v_fma_f16 v124, v68, s2, v168
	v_mul_f16_e32 v169, 0xb1e1, v150
	v_add_f16_e32 v123, v124, v123
	v_fma_f16 v124, v69, s25, v169
	v_mul_f16_e32 v170, 0x3964, v152
	v_add_f16_e32 v123, v124, v123
	v_fma_f16 v124, v94, s3, v170
	v_mul_f16_e32 v171, 0xbbb2, v154
	v_add_f16_e32 v123, v124, v123
	v_fma_f16 v124, v121, s15, v171
	v_mul_f16_e32 v172, 0xb8d2, v71
	buffer_store_dword v54, off, s[40:43], 0 offset:24 ; 4-byte Folded Spill
	v_add_f16_e32 v54, v124, v123
	v_fma_f16 v124, v55, s28, v172
	v_mul_f16_e32 v173, 0xb461, v126
	v_add_f16_e32 v124, v112, v124
	v_fma_f16 v125, v56, s18, v173
	v_mul_f16_e32 v174, 0x3b76, v128
	v_add_f16_e32 v124, v125, v124
	v_fma_f16 v125, v57, s31, v174
	v_mul_f16_e32 v175, 0xbacd, v130
	v_add_f16_e32 v124, v125, v124
	v_fma_f16 v125, v58, s27, v175
	v_mul_f16_e32 v176, 0x2de8, v132
	v_add_f16_e32 v124, v125, v124
	v_fma_f16 v125, v59, s16, v176
	v_mul_f16_e32 v177, 0x39e9, v134
	v_add_f16_e32 v124, v125, v124
	v_fma_f16 v125, v60, s23, v177
	v_mul_f16_e32 v178, 0xbbdd, v136
	v_add_f16_e32 v124, v125, v124
	v_fma_f16 v125, v61, s30, v178
	v_mul_f16_e32 v179, 0x3722, v138
	v_add_f16_e32 v124, v125, v124
	v_fma_f16 v125, v62, s14, v179
	v_mul_f16_e32 v180, 0xba62, v140
	buffer_store_dword v54, off, s[40:43], 0 offset:28 ; 4-byte Folded Spill
	v_add_f16_e32 v54, v125, v124
	v_fma_f16 v125, v63, s17, v180
	v_mul_f16_e32 v181, 0x3bb2, v142
	v_add_f16_e32 v125, v111, v125
	v_fma_f16 v182, v64, s15, v181
	v_add_f16_e32 v125, v182, v125
	v_mul_f16_e32 v182, 0xb5c8, v144
	v_fma_f16 v183, v65, s2, v182
	v_add_f16_e32 v125, v183, v125
	v_mul_f16_e32 v183, 0xb836, v146
	;; [unrolled: 3-line block ×7, first 2 shown]
	v_fma_f16 v189, v55, s24, v188
	v_mul_f16_e32 v190, 0xbacd, v126
	v_add_f16_e32 v189, v112, v189
	v_fma_f16 v191, v56, s22, v190
	v_add_f16_e32 v189, v191, v189
	v_mul_f16_e32 v191, 0x39e9, v128
	v_fma_f16 v192, v57, s12, v191
	v_add_f16_e32 v189, v192, v189
	v_mul_f16_e32 v192, 0x3722, v130
	;; [unrolled: 3-line block ×7, first 2 shown]
	v_fma_f16 v198, v63, s15, v197
	v_mul_f16_e32 v199, 0x3836, v142
	v_add_f16_e32 v198, v111, v198
	v_fma_f16 v200, v64, s20, v199
	v_add_f16_e32 v198, v200, v198
	v_mul_f16_e32 v200, 0x3964, v144
	v_fma_f16 v201, v65, s3, v200
	v_add_f16_e32 v198, v201, v198
	v_mul_f16_e32 v201, 0xbb29, v146
	v_fma_f16 v202, v66, s5, v201
	v_add_f16_e32 v198, v202, v198
	v_mul_f16_e32 v202, 0xb1e1, v148
	v_fma_f16 v203, v68, s25, v202
	v_add_f16_e32 v198, v203, v198
	v_mul_f16_e32 v203, 0x3bf7, v150
	v_fma_f16 v204, v69, s13, v203
	v_add_f16_e32 v50, v50, v111
	v_add_f16_e32 v198, v204, v198
	v_mul_f16_e32 v204, 0xb5c8, v152
	v_add_f16_e32 v50, v51, v50
	v_fma_f16 v205, v94, s2, v204
	v_add_f16_e32 v48, v48, v50
	v_add_f16_e32 v198, v205, v198
	v_mul_f16_e32 v205, 0xba62, v154
	v_add_f16_e32 v48, v49, v48
	;; [unrolled: 5-line block ×3, first 2 shown]
	v_fma_f16 v207, v55, s29, v206
	v_mul_f16_e32 v208, 0xbbdd, v126
	v_add_f16_e32 v32, v32, v48
	v_add_f16_e32 v207, v112, v207
	v_fma_f16 v209, v56, s30, v208
	v_add_f16_e32 v32, v33, v32
	v_add_f16_e32 v207, v209, v207
	v_mul_f16_e32 v209, 0xb461, v128
	v_add_f16_e32 v32, v34, v32
	v_fma_f16 v210, v57, s18, v209
	v_add_f16_e32 v32, v35, v32
	v_add_f16_e32 v207, v210, v207
	v_mul_f16_e32 v210, 0x3b76, v130
	;; [unrolled: 5-line block ×4, first 2 shown]
	v_add_f16_e32 v24, v24, v26
	v_fma_f16 v26, v55, s26, v76
	v_fma_f16 v213, v60, s27, v212
	v_add_f16_e32 v26, v112, v26
	v_fma_f16 v27, v56, s31, v127
	v_add_f16_e32 v207, v213, v207
	v_mul_f16_e32 v213, 0xb8d2, v136
	v_add_f16_e32 v26, v27, v26
	v_fma_f16 v27, v57, s22, v129
	v_fma_f16 v214, v61, s21, v213
	v_add_f16_e32 v26, v27, v26
	v_fma_f16 v27, v58, s23, v131
	v_add_f16_e32 v207, v214, v207
	v_mul_f16_e32 v214, 0x39e9, v138
	;; [unrolled: 7-line block ×3, first 2 shown]
	v_add_f16_e32 v26, v27, v26
	v_fma_f16 v27, v61, s18, v137
	v_fma_f16 v216, v63, s13, v215
	v_mul_f16_e32 v217, 0xb1e1, v142
	v_add_f16_e32 v26, v27, v26
	v_fma_f16 v27, v62, s29, v139
	v_add_f16_e32 v216, v111, v216
	v_fma_f16 v218, v64, s25, v217
	v_add_f16_e32 v26, v27, v26
	v_fma_f16 v27, v63, s25, -v141
	v_add_f16_e32 v216, v218, v216
	v_mul_f16_e32 v218, 0x3bb2, v144
	v_add_f16_e32 v27, v111, v27
	v_fma_f16 v28, v64, s2, -v143
	v_fma_f16 v219, v65, s15, v218
	v_add_f16_e32 v27, v28, v27
	v_fma_f16 v28, v65, s20, -v145
	v_add_f16_e32 v216, v219, v216
	v_mul_f16_e32 v219, 0x35c8, v146
	v_add_f16_e32 v27, v28, v27
	v_fma_f16 v28, v66, s3, -v147
	;; [unrolled: 7-line block ×4, first 2 shown]
	v_fma_f16 v222, v69, s20, v221
	v_add_f16_e32 v27, v28, v27
	v_fma_f16 v28, v55, s22, v156
	v_add_f16_e32 v216, v222, v216
	v_mul_f16_e32 v222, 0x3a62, v152
	v_add_f16_e32 v28, v112, v28
	v_fma_f16 v29, v56, s19, v157
	v_fma_f16 v223, v94, s17, v222
	v_add_f16_e32 v24, v25, v24
	v_add_f16_e32 v25, v117, v112
	;; [unrolled: 1-line block ×3, first 2 shown]
	v_fma_f16 v29, v57, s16, v158
	v_add_f16_e32 v216, v223, v216
	v_mul_f16_e32 v223, 0x3964, v154
	v_add_f16_e32 v25, v119, v25
	v_add_f16_e32 v28, v29, v28
	v_fma_f16 v29, v58, s28, v159
	v_fma_f16 v224, v121, s3, v223
	v_add_f16_e32 v25, v115, v25
	v_add_f16_e32 v28, v29, v28
	v_fma_f16 v29, v59, s4, v160
	v_add_f16_e32 v216, v224, v216
	v_mul_f16_e32 v224, 0x3722, v71
	v_add_f16_e32 v25, v116, v25
	v_add_f16_e32 v28, v29, v28
	v_fma_f16 v29, v60, s26, v161
	v_fma_f16 v225, v55, s19, v224
	v_mul_f16_e32 v226, 0xb8d2, v126
	v_add_f16_e32 v25, v118, v25
	v_add_f16_e32 v28, v29, v28
	v_fma_f16 v29, v61, s23, v162
	v_add_f16_e32 v225, v112, v225
	v_fma_f16 v227, v56, s28, v226
	v_add_f16_e32 v25, v120, v25
	v_add_f16_e32 v28, v29, v28
	v_fma_f16 v29, v62, s18, v163
	v_add_f16_e32 v225, v227, v225
	v_mul_f16_e32 v227, 0xbbdd, v128
	v_add_f16_e32 v25, v93, v25
	v_add_f16_e32 v28, v29, v28
	v_fma_f16 v29, v63, s20, -v164
	v_fma_f16 v228, v57, s26, v227
	v_mov_b32_e32 v103, v114
	v_mov_b32_e32 v114, v113
	;; [unrolled: 1-line block ×8, first 2 shown]
	v_add_f16_e32 v25, v101, v25
	v_add_f16_e32 v29, v111, v29
	v_fma_f16 v32, v64, s5, -v165
	v_add_f16_e32 v225, v228, v225
	v_mul_f16_e32 v228, 0xb461, v130
	v_add_f16_e32 v25, v82, v25
	v_add_f16_e32 v29, v32, v29
	v_fma_f16 v32, v65, s13, -v166
	v_fma_f16 v229, v58, s18, v228
	v_add_f16_e32 v25, v100, v25
	v_add_f16_e32 v29, v32, v29
	v_fma_f16 v32, v66, s17, -v167
	v_add_f16_e32 v225, v229, v225
	v_mul_f16_e32 v229, 0x39e9, v132
	v_add_f16_e32 v25, v102, v25
	v_add_f16_e32 v29, v32, v29
	v_fma_f16 v32, v68, s2, -v168
	v_fma_f16 v230, v59, s12, v229
	;; [unrolled: 9-line block ×3, first 2 shown]
	v_add_f16_e32 v25, v97, v25
	v_add_f16_e32 v29, v32, v29
	v_fma_f16 v32, v121, s15, -v171
	v_add_f16_e32 v225, v231, v225
	v_mul_f16_e32 v231, 0x2de8, v136
	v_add_f16_e32 v25, v96, v25
	v_add_f16_e32 v29, v32, v29
	v_fma_f16 v32, v55, s21, v172
	v_fma_f16 v232, v61, s29, v231
	v_add_f16_sdwa v25, v33, v25 dst_sel:DWORD dst_unused:UNUSED_PAD src0_sel:WORD_1 src1_sel:DWORD
	v_add_f16_e32 v32, v112, v32
	v_fma_f16 v33, v56, s24, v173
	v_add_f16_e32 v225, v232, v225
	v_mul_f16_e32 v232, 0xbacd, v138
	v_add_f16_e32 v32, v33, v32
	v_fma_f16 v33, v57, s4, v174
	v_fma_f16 v233, v62, s27, v232
	v_add_f16_e32 v32, v33, v32
	v_fma_f16 v33, v58, s22, v175
	v_add_f16_e32 v225, v233, v225
	v_mul_f16_e32 v233, 0xbb29, v140
	v_add_f16_e32 v32, v33, v32
	v_fma_f16 v33, v59, s29, v176
	v_fma_f16 v234, v63, s5, v233
	v_mul_f16_e32 v235, 0xba62, v142
	v_add_f16_e32 v32, v33, v32
	v_fma_f16 v33, v60, s12, v177
	v_add_f16_e32 v234, v111, v234
	v_fma_f16 v236, v64, s17, v235
	;; [unrolled: 2-line block ×3, first 2 shown]
	v_add_f16_e32 v234, v236, v234
	v_mul_f16_e32 v236, 0x31e1, v144
	v_add_f16_e32 v32, v33, v32
	v_fma_f16 v33, v62, s19, v179
	v_fma_f16 v237, v65, s25, v236
	v_add_f16_e32 v32, v33, v32
	v_fma_f16 v33, v63, s17, -v180
	v_add_f16_e32 v234, v237, v234
	v_mul_f16_e32 v237, 0x3bb2, v146
	v_add_f16_e32 v33, v111, v33
	v_fma_f16 v34, v64, s15, -v181
	v_fma_f16 v238, v66, s15, v237
	v_add_f16_e32 v33, v34, v33
	v_fma_f16 v34, v65, s2, -v182
	v_add_f16_e32 v234, v238, v234
	v_mul_f16_e32 v238, 0x3964, v148
	v_add_f16_e32 v33, v34, v33
	v_fma_f16 v34, v66, s20, -v183
	;; [unrolled: 7-line block ×4, first 2 shown]
	v_fma_f16 v241, v94, s13, v240
	v_add_f16_e32 v33, v34, v33
	v_fma_f16 v34, v55, s18, v188
	v_add_f16_e32 v234, v241, v234
	v_mul_f16_e32 v241, 0xb836, v154
	v_add_f16_e32 v34, v112, v34
	v_fma_f16 v35, v56, s27, v190
	v_fma_f16 v242, v121, s20, v241
	v_add_f16_e32 v34, v35, v34
	v_fma_f16 v35, v57, s23, v191
	v_add_f16_e32 v234, v242, v234
	v_mul_f16_e32 v242, 0x39e9, v71
	v_add_f16_e32 v34, v35, v34
	v_fma_f16 v35, v58, s14, v192
	v_fma_f16 v243, v55, s23, v242
	v_mul_f16_e32 v244, 0x2de8, v126
	v_add_f16_e32 v34, v35, v34
	v_fma_f16 v35, v59, s26, v193
	v_add_f16_e32 v243, v112, v243
	v_fma_f16 v245, v56, s29, v244
	;; [unrolled: 2-line block ×3, first 2 shown]
	v_add_f16_e32 v243, v245, v243
	v_mul_f16_e32 v245, 0xb8d2, v128
	v_add_f16_e32 v34, v35, v34
	v_fma_f16 v35, v61, s4, v195
	v_fma_f16 v246, v57, s28, v245
	v_add_f16_e32 v34, v35, v34
	v_fma_f16 v35, v62, s21, v196
	v_add_f16_e32 v243, v246, v243
	v_mul_f16_e32 v246, 0xbbdd, v130
	v_add_f16_e32 v34, v35, v34
	v_fma_f16 v35, v63, s15, -v197
	v_fma_f16 v247, v58, s30, v246
	v_add_f16_e32 v35, v111, v35
	v_fma_f16 v48, v64, s20, -v199
	v_add_f16_e32 v243, v247, v243
	v_mul_f16_e32 v247, 0xbacd, v132
	v_add_f16_e32 v35, v48, v35
	v_fma_f16 v48, v65, s3, -v200
	v_fma_f16 v248, v59, s22, v247
	v_add_f16_e32 v35, v48, v35
	v_fma_f16 v48, v66, s5, -v201
	;; [unrolled: 7-line block ×4, first 2 shown]
	v_add_f16_e32 v243, v250, v243
	v_mul_f16_e32 v250, 0x3b76, v138
	v_add_f16_e32 v35, v48, v35
	v_fma_f16 v48, v55, s16, v206
	v_fma_f16 v251, v62, s4, v250
	v_add_f16_e32 v48, v112, v48
	v_fma_f16 v49, v56, s26, v208
	v_add_f16_e32 v243, v251, v243
	v_mul_f16_e32 v251, 0xb964, v140
	v_add_f16_e32 v48, v49, v48
	v_fma_f16 v49, v57, s24, v209
	v_fma_f16 v252, v63, s3, v251
	v_mul_f16_e32 v253, 0xbbf7, v142
	v_add_f16_e32 v48, v49, v48
	v_fma_f16 v49, v58, s31, v210
	v_add_f16_e32 v252, v111, v252
	v_fma_f16 v254, v64, s13, v253
	;; [unrolled: 2-line block ×3, first 2 shown]
	v_add_f16_e32 v252, v254, v252
	v_mul_f16_e32 v254, 0xba62, v144
	v_add_f16_e32 v48, v49, v48
	v_fma_f16 v49, v60, s22, v212
	v_fma_f16 v255, v65, s17, v254
	v_add_f16_e32 v48, v49, v48
	v_fma_f16 v49, v61, s28, v213
	v_add_f16_e32 v252, v255, v252
	v_mul_f16_e32 v255, 0xb1e1, v146
	v_add_f16_e32 v48, v49, v48
	v_fma_f16 v49, v62, s23, v214
	v_fma_f16 v95, v66, s25, v255
	v_add_f16_e32 v48, v49, v48
	v_fma_f16 v49, v63, s13, -v215
	v_add_f16_e32 v95, v95, v252
	v_mul_f16_e32 v252, 0x3836, v148
	v_add_f16_e32 v49, v111, v49
	v_fma_f16 v50, v64, s25, -v217
	v_mov_b32_e32 v124, v81
	v_fma_f16 v81, v68, s20, v252
	v_add_f16_e32 v49, v50, v49
	v_fma_f16 v50, v65, s15, -v218
	v_add_f16_e32 v81, v81, v95
	v_mul_f16_e32 v95, 0x3bb2, v150
	v_add_f16_e32 v49, v50, v49
	v_fma_f16 v50, v66, s2, -v219
	v_mov_b32_e32 v104, v110
	v_mov_b32_e32 v110, v109
	;; [unrolled: 1-line block ×7, first 2 shown]
	v_fma_f16 v85, v69, s15, v95
	v_add_f16_e32 v49, v50, v49
	v_fma_f16 v50, v68, s5, -v220
	v_add_f16_e32 v81, v85, v81
	v_mul_f16_e32 v85, 0x3b29, v152
	v_add_f16_e32 v49, v50, v49
	v_fma_f16 v50, v69, s20, -v221
	buffer_store_dword v54, off, s[40:43], 0 offset:32 ; 4-byte Folded Spill
	v_fma_f16 v54, v94, s5, v85
	v_add_f16_e32 v49, v50, v49
	v_fma_f16 v50, v94, s17, -v222
	v_add_f16_e32 v54, v54, v81
	v_mul_f16_e32 v81, 0x35c8, v154
	v_add_f16_e32 v49, v50, v49
	v_fma_f16 v50, v121, s3, -v223
	v_fma_f16 v67, v121, s2, v81
	v_add_f16_e32 v49, v50, v49
	v_fma_f16 v50, v55, s14, v224
	v_add_f16_e32 v54, v67, v54
	v_mul_f16_e32 v67, 0x3b76, v71
	v_add_f16_e32 v50, v112, v50
	v_fma_f16 v51, v56, s21, v226
	v_fma_f16 v71, v55, s31, v67
	v_mul_f16_e32 v126, 0x39e9, v126
	v_add_f16_e32 v50, v51, v50
	v_fma_f16 v51, v57, s30, v227
	v_add_f16_e32 v71, v112, v71
	v_fma_f16 v122, v56, s23, v126
	;; [unrolled: 2-line block ×3, first 2 shown]
	v_add_f16_e32 v71, v122, v71
	v_mul_f16_e32 v122, 0x3722, v128
	v_add_f16_e32 v50, v51, v50
	v_fma_f16 v51, v59, s23, v229
	v_fma_f16 v128, v57, s19, v122
	v_add_f16_e32 v50, v51, v50
	v_fma_f16 v51, v60, s4, v230
	v_add_f16_e32 v71, v128, v71
	v_mul_f16_e32 v128, 0x2de8, v130
	v_add_f16_e32 v50, v51, v50
	v_fma_f16 v51, v61, s16, v231
	v_fma_f16 v130, v58, s29, v128
	v_add_f16_e32 v50, v51, v50
	v_fma_f16 v51, v62, s22, v232
	v_add_f16_e32 v71, v130, v71
	v_mul_f16_e32 v130, 0xb461, v132
	v_add_f16_e32 v50, v51, v50
	v_fma_f16 v51, v63, s5, -v233
	v_fma_f16 v132, v59, s24, v130
	v_add_f16_e32 v51, v111, v51
	v_fma_f16 v52, v64, s17, -v235
	v_add_f16_e32 v71, v132, v71
	v_mul_f16_e32 v132, 0xb8d2, v134
	v_add_f16_e32 v51, v52, v51
	v_fma_f16 v52, v65, s25, -v236
	v_fma_f16 v134, v60, s28, v132
	v_add_f16_e32 v51, v52, v51
	v_fma_f16 v52, v66, s15, -v237
	;; [unrolled: 7-line block ×4, first 2 shown]
	v_add_f16_e32 v71, v138, v71
	v_mul_f16_e32 v138, 0xb5c8, v140
	v_add_f16_e32 v51, v52, v51
	v_fma_f16 v52, v55, s12, v242
	v_fma_f16 v55, v55, s4, v67
	v_fma_f16 v140, v63, s2, v138
	v_mul_f16_e32 v142, 0xb964, v142
	v_fma_f16 v53, v56, s16, v244
	v_add_f16_e32 v55, v112, v55
	v_fma_f16 v56, v56, s12, v126
	v_add_f16_e32 v140, v111, v140
	;; [unrolled: 2-line block ×4, first 2 shown]
	v_mul_f16_e32 v140, 0xbb29, v144
	v_add_f16_e32 v55, v56, v55
	v_fma_f16 v56, v58, s16, v128
	v_fma_f16 v144, v65, s5, v140
	v_add_f16_e32 v55, v56, v55
	v_fma_f16 v56, v59, s18, v130
	v_add_f16_e32 v123, v144, v123
	v_mul_f16_e32 v144, 0xbbf7, v146
	v_add_f16_e32 v55, v56, v55
	v_fma_f16 v56, v60, s21, v132
	v_fma_f16 v146, v66, s13, v144
	v_add_f16_e32 v55, v56, v55
	v_fma_f16 v56, v61, s22, v134
	v_add_f16_e32 v123, v146, v123
	v_mul_f16_e32 v146, 0xbbb2, v148
	v_add_f16_e32 v55, v56, v55
	v_fma_f16 v56, v62, s26, v136
	v_fma_f16 v148, v68, s15, v146
	v_add_f16_e32 v52, v112, v52
	v_add_f16_e32 v55, v56, v55
	v_fma_f16 v56, v63, s2, -v138
	v_add_f16_e32 v123, v148, v123
	v_mul_f16_e32 v148, 0xba62, v150
	v_add_f16_e32 v52, v53, v52
	v_fma_f16 v53, v57, s21, v245
	v_add_f16_e32 v56, v111, v56
	v_fma_f16 v57, v64, s3, -v142
	v_fma_f16 v150, v69, s17, v148
	v_add_f16_e32 v56, v57, v56
	v_fma_f16 v57, v65, s5, -v140
	v_add_f16_e32 v123, v150, v123
	v_mul_f16_e32 v150, 0xb836, v152
	v_add_f16_e32 v56, v57, v56
	v_fma_f16 v57, v66, s13, -v144
	v_fma_f16 v152, v94, s20, v150
	v_add_f16_e32 v56, v57, v56
	v_fma_f16 v57, v68, s15, -v146
	v_add_f16_e32 v123, v152, v123
	v_mul_f16_e32 v152, 0xb1e1, v154
	v_add_f16_e32 v56, v57, v56
	v_fma_f16 v57, v69, s17, -v148
	v_fma_f16 v154, v121, s25, v152
	v_add_f16_e32 v56, v57, v56
	v_fma_f16 v57, v94, s20, -v150
	v_add_f16_e32 v123, v154, v123
	v_add_f16_e32 v56, v57, v56
	v_fma_f16 v57, v121, s25, -v152
	v_add_f16_e32 v52, v53, v52
	v_fma_f16 v53, v58, s26, v246
	v_add_f16_e32 v56, v57, v56
	v_lshl_add_u32 v57, v124, 2, v105
	v_pack_b32_f16 v58, v123, v71
	v_pack_b32_f16 v24, v24, v25
	ds_write2_b32 v57, v24, v58 offset1:1
	v_pack_b32_f16 v24, v234, v225
	v_pack_b32_f16 v25, v54, v243
	ds_write2_b32 v57, v25, v24 offset0:2 offset1:3
	v_pack_b32_f16 v24, v198, v189
	v_pack_b32_f16 v25, v216, v207
	ds_write2_b32 v57, v25, v24 offset0:4 offset1:5
	buffer_load_dword v24, off, s[40:43], 0 offset:24 ; 4-byte Folded Reload
	buffer_load_dword v25, off, s[40:43], 0 offset:28 ; 4-byte Folded Reload
	v_add_f16_e32 v52, v53, v52
	v_fma_f16 v53, v59, s27, v247
	v_add_f16_e32 v52, v53, v52
	v_fma_f16 v53, v60, s24, v248
	v_add_f16_e32 v52, v53, v52
	v_fma_f16 v53, v61, s19, v249
	v_add_f16_e32 v52, v53, v52
	v_fma_f16 v53, v62, s31, v250
	v_add_f16_e32 v52, v53, v52
	v_fma_f16 v53, v63, s3, -v251
	v_add_f16_e32 v53, v111, v53
	v_fma_f16 v76, v64, s13, -v253
	;; [unrolled: 2-line block ×8, first 2 shown]
	v_add_f16_e32 v53, v76, v53
	v_mov_b32_e32 v82, v83
	v_mov_b32_e32 v83, v84
	;; [unrolled: 1-line block ×13, first 2 shown]
	s_waitcnt vmcnt(0)
	v_pack_b32_f16 v24, v25, v24
	buffer_load_dword v25, off, s[40:43], 0 offset:32 ; 4-byte Folded Reload
	s_waitcnt vmcnt(0)
	v_pack_b32_f16 v25, v125, v25
	ds_write2_b32 v57, v25, v24 offset0:6 offset1:7
	v_pack_b32_f16 v24, v27, v26
	buffer_load_dword v25, off, s[40:43], 0 offset:16 ; 4-byte Folded Reload
	buffer_load_dword v26, off, s[40:43], 0 offset:20 ; 4-byte Folded Reload
	s_waitcnt vmcnt(0)
	v_pack_b32_f16 v25, v26, v25
	ds_write2_b32 v57, v25, v24 offset0:8 offset1:9
	v_pack_b32_f16 v24, v33, v32
	v_pack_b32_f16 v25, v29, v28
	ds_write2_b32 v57, v25, v24 offset0:10 offset1:11
	v_pack_b32_f16 v24, v49, v48
	v_pack_b32_f16 v25, v35, v34
	ds_write2_b32 v57, v25, v24 offset0:12 offset1:13
	v_pack_b32_f16 v24, v53, v52
	v_pack_b32_f16 v25, v51, v50
	ds_write2_b32 v57, v25, v24 offset0:14 offset1:15
	v_pack_b32_f16 v24, v56, v55
	ds_write_b32 v57, v24 offset:64
.LBB0_13:
	s_or_b64 exec, exec, s[0:1]
	s_waitcnt lgkmcnt(0)
	; wave barrier
	s_waitcnt lgkmcnt(0)
	ds_read2_b32 v[25:26], v70 offset1:17
	ds_read2_b32 v[27:28], v70 offset0:136 offset1:153
	v_add_u32_e32 v24, 0x400, v70
	ds_read2_b32 v[32:33], v24 offset0:16 offset1:33
	ds_read2_b32 v[34:35], v70 offset0:34 offset1:51
	;; [unrolled: 1-line block ×7, first 2 shown]
	s_waitcnt lgkmcnt(7)
	v_lshrrev_b32_e32 v64, 16, v27
	v_mul_f16_sdwa v112, v30, v64 dst_sel:DWORD dst_unused:UNUSED_PAD src0_sel:WORD_1 src1_sel:DWORD
	s_waitcnt lgkmcnt(6)
	v_lshrrev_b32_e32 v65, 16, v32
	v_fma_f16 v112, v30, v27, v112
	v_mul_f16_sdwa v27, v30, v27 dst_sel:DWORD dst_unused:UNUSED_PAD src0_sel:WORD_1 src1_sel:DWORD
	v_fma_f16 v27, v30, v64, -v27
	v_mul_f16_sdwa v64, v31, v65 dst_sel:DWORD dst_unused:UNUSED_PAD src0_sel:WORD_1 src1_sel:DWORD
	v_lshrrev_b32_e32 v67, 16, v28
	v_fma_f16 v64, v31, v32, v64
	v_mul_f16_sdwa v32, v31, v32 dst_sel:DWORD dst_unused:UNUSED_PAD src0_sel:WORD_1 src1_sel:DWORD
	v_fma_f16 v32, v31, v65, -v32
	v_mul_f16_sdwa v65, v30, v67 dst_sel:DWORD dst_unused:UNUSED_PAD src0_sel:WORD_1 src1_sel:DWORD
	;; [unrolled: 5-line block ×3, first 2 shown]
	s_waitcnt lgkmcnt(4)
	v_lshrrev_b32_e32 v71, 16, v48
	v_fma_f16 v30, v31, v33, v30
	v_mul_f16_sdwa v33, v31, v33 dst_sel:DWORD dst_unused:UNUSED_PAD src0_sel:WORD_1 src1_sel:DWORD
	v_fma_f16 v31, v31, v68, -v33
	v_mul_f16_sdwa v33, v36, v71 dst_sel:DWORD dst_unused:UNUSED_PAD src0_sel:WORD_1 src1_sel:DWORD
	s_waitcnt lgkmcnt(3)
	v_lshrrev_b32_e32 v76, 16, v50
	v_fma_f16 v33, v36, v48, v33
	v_mul_f16_sdwa v48, v36, v48 dst_sel:DWORD dst_unused:UNUSED_PAD src0_sel:WORD_1 src1_sel:DWORD
	v_fma_f16 v36, v36, v71, -v48
	v_mul_f16_sdwa v48, v37, v76 dst_sel:DWORD dst_unused:UNUSED_PAD src0_sel:WORD_1 src1_sel:DWORD
	v_lshrrev_b32_e32 v85, 16, v49
	v_fma_f16 v48, v37, v50, v48
	v_mul_f16_sdwa v50, v37, v50 dst_sel:DWORD dst_unused:UNUSED_PAD src0_sel:WORD_1 src1_sel:DWORD
	v_fma_f16 v37, v37, v76, -v50
	v_mul_f16_sdwa v50, v40, v85 dst_sel:DWORD dst_unused:UNUSED_PAD src0_sel:WORD_1 src1_sel:DWORD
	;; [unrolled: 5-line block ×3, first 2 shown]
	s_waitcnt lgkmcnt(1)
	v_lshrrev_b32_e32 v95, 16, v54
	v_fma_f16 v49, v41, v51, v49
	v_mul_f16_sdwa v51, v41, v51 dst_sel:DWORD dst_unused:UNUSED_PAD src0_sel:WORD_1 src1_sel:DWORD
	v_fma_f16 v41, v41, v93, -v51
	v_mul_f16_sdwa v51, v38, v95 dst_sel:DWORD dst_unused:UNUSED_PAD src0_sel:WORD_1 src1_sel:DWORD
	s_waitcnt lgkmcnt(0)
	v_lshrrev_b32_e32 v96, 16, v56
	v_fma_f16 v51, v38, v54, v51
	v_mul_f16_sdwa v54, v38, v54 dst_sel:DWORD dst_unused:UNUSED_PAD src0_sel:WORD_1 src1_sel:DWORD
	v_fma_f16 v38, v38, v95, -v54
	v_mul_f16_sdwa v54, v39, v96 dst_sel:DWORD dst_unused:UNUSED_PAD src0_sel:WORD_1 src1_sel:DWORD
	ds_read2_b32 v[58:59], v70 offset0:102 offset1:119
	ds_read2_b32 v[60:61], v70 offset0:238 offset1:255
	;; [unrolled: 1-line block ×3, first 2 shown]
	v_lshrrev_b32_e32 v98, 16, v55
	v_fma_f16 v54, v39, v56, v54
	v_mul_f16_sdwa v56, v39, v56 dst_sel:DWORD dst_unused:UNUSED_PAD src0_sel:WORD_1 src1_sel:DWORD
	v_fma_f16 v39, v39, v96, -v56
	v_mul_f16_sdwa v56, v42, v98 dst_sel:DWORD dst_unused:UNUSED_PAD src0_sel:WORD_1 src1_sel:DWORD
	v_lshrrev_b32_e32 v99, 16, v57
	v_fma_f16 v56, v42, v55, v56
	v_mul_f16_sdwa v55, v42, v55 dst_sel:DWORD dst_unused:UNUSED_PAD src0_sel:WORD_1 src1_sel:DWORD
	v_fma_f16 v42, v42, v98, -v55
	v_mul_f16_sdwa v55, v43, v99 dst_sel:DWORD dst_unused:UNUSED_PAD src0_sel:WORD_1 src1_sel:DWORD
	s_waitcnt lgkmcnt(1)
	v_lshrrev_b32_e32 v101, 16, v60
	v_fma_f16 v55, v43, v57, v55
	v_mul_f16_sdwa v57, v43, v57 dst_sel:DWORD dst_unused:UNUSED_PAD src0_sel:WORD_1 src1_sel:DWORD
	v_fma_f16 v43, v43, v99, -v57
	v_mul_f16_sdwa v57, v44, v101 dst_sel:DWORD dst_unused:UNUSED_PAD src0_sel:WORD_1 src1_sel:DWORD
	s_waitcnt lgkmcnt(0)
	v_lshrrev_b32_e32 v102, 16, v62
	v_fma_f16 v57, v44, v60, v57
	v_mul_f16_sdwa v60, v44, v60 dst_sel:DWORD dst_unused:UNUSED_PAD src0_sel:WORD_1 src1_sel:DWORD
	v_fma_f16 v44, v44, v101, -v60
	v_mul_f16_sdwa v60, v45, v102 dst_sel:DWORD dst_unused:UNUSED_PAD src0_sel:WORD_1 src1_sel:DWORD
	v_lshrrev_b32_e32 v104, 16, v61
	v_fma_f16 v60, v45, v62, v60
	v_mul_f16_sdwa v62, v45, v62 dst_sel:DWORD dst_unused:UNUSED_PAD src0_sel:WORD_1 src1_sel:DWORD
	v_fma_f16 v45, v45, v102, -v62
	v_mul_f16_sdwa v62, v46, v104 dst_sel:DWORD dst_unused:UNUSED_PAD src0_sel:WORD_1 src1_sel:DWORD
	;; [unrolled: 5-line block ×3, first 2 shown]
	v_fma_f16 v61, v47, v63, v61
	v_mul_f16_sdwa v63, v47, v63 dst_sel:DWORD dst_unused:UNUSED_PAD src0_sel:WORD_1 src1_sel:DWORD
	v_add_f16_e32 v67, v112, v64
	v_lshrrev_b32_e32 v29, 16, v25
	v_fma_f16 v47, v47, v111, -v63
	v_add_f16_e32 v63, v25, v112
	v_fma_f16 v25, v67, -0.5, v25
	v_sub_f16_e32 v67, v27, v32
	s_mov_b32 s0, 0xbaee
	s_movk_i32 s1, 0x3aee
	v_fma_f16 v68, v67, s0, v25
	v_fma_f16 v25, v67, s1, v25
	v_add_f16_e32 v67, v29, v27
	v_add_f16_e32 v27, v27, v32
	v_add_f16_e32 v63, v63, v64
	v_fma_f16 v27, v27, -0.5, v29
	v_sub_f16_e32 v29, v112, v64
	v_add_f16_e32 v64, v65, v30
	v_lshrrev_b32_e32 v66, 16, v26
	v_add_f16_e32 v67, v67, v32
	v_fma_f16 v32, v29, s1, v27
	v_fma_f16 v27, v29, s0, v27
	v_add_f16_e32 v29, v26, v65
	v_fma_f16 v26, v64, -0.5, v26
	v_sub_f16_e32 v64, v28, v31
	v_fma_f16 v71, v64, s0, v26
	v_fma_f16 v26, v64, s1, v26
	v_add_f16_e32 v64, v66, v28
	v_add_f16_e32 v28, v28, v31
	v_add_f16_e32 v29, v29, v30
	v_fma_f16 v28, v28, -0.5, v66
	v_sub_f16_e32 v30, v65, v30
	v_add_f16_e32 v65, v33, v48
	v_lshrrev_b32_e32 v69, 16, v34
	v_add_f16_e32 v64, v64, v31
	v_fma_f16 v31, v30, s1, v28
	v_fma_f16 v28, v30, s0, v28
	v_add_f16_e32 v30, v34, v33
	v_fma_f16 v34, v65, -0.5, v34
	v_sub_f16_e32 v65, v36, v37
	;; [unrolled: 15-line block ×4, first 2 shown]
	v_fma_f16 v76, v52, s0, v50
	v_fma_f16 v50, v52, s1, v50
	v_add_f16_e32 v52, v94, v38
	v_add_f16_e32 v38, v38, v39
	;; [unrolled: 1-line block ×4, first 2 shown]
	v_fma_f16 v38, v38, -0.5, v94
	v_sub_f16_e32 v39, v51, v54
	v_add_f16_e32 v54, v56, v55
	v_lshrrev_b32_e32 v97, 16, v53
	v_fma_f16 v51, v39, s1, v38
	v_fma_f16 v38, v39, s0, v38
	v_add_f16_e32 v39, v53, v56
	v_fma_f16 v53, v54, -0.5, v53
	v_sub_f16_e32 v54, v42, v43
	v_fma_f16 v81, v54, s0, v53
	v_fma_f16 v53, v54, s1, v53
	v_add_f16_e32 v54, v97, v42
	v_add_f16_e32 v42, v42, v43
	;; [unrolled: 1-line block ×3, first 2 shown]
	v_fma_f16 v42, v42, -0.5, v97
	v_sub_f16_e32 v43, v56, v55
	v_add_f16_e32 v56, v57, v60
	v_lshrrev_b32_e32 v100, 16, v58
	v_add_f16_e32 v39, v39, v55
	v_fma_f16 v55, v43, s1, v42
	v_fma_f16 v42, v43, s0, v42
	v_add_f16_e32 v43, v58, v57
	v_fma_f16 v56, v56, -0.5, v58
	v_sub_f16_e32 v58, v44, v45
	v_fma_f16 v85, v58, s0, v56
	v_fma_f16 v56, v58, s1, v56
	v_add_f16_e32 v58, v100, v44
	v_add_f16_e32 v44, v44, v45
	;; [unrolled: 1-line block ×4, first 2 shown]
	v_fma_f16 v44, v44, -0.5, v100
	v_sub_f16_e32 v45, v57, v60
	v_add_f16_e32 v60, v62, v61
	v_lshrrev_b32_e32 v103, 16, v59
	v_fma_f16 v57, v45, s1, v44
	v_fma_f16 v44, v45, s0, v44
	v_add_f16_e32 v45, v59, v62
	v_fma_f16 v59, v60, -0.5, v59
	v_sub_f16_e32 v60, v46, v47
	v_fma_f16 v93, v60, s0, v59
	v_fma_f16 v59, v60, s1, v59
	v_add_f16_e32 v60, v103, v46
	v_add_f16_e32 v46, v46, v47
	v_pack_b32_f16 v25, v25, v27
	v_pack_b32_f16 v27, v29, v64
	v_add_f16_e32 v60, v60, v47
	v_fma_f16 v46, v46, -0.5, v103
	v_sub_f16_e32 v47, v62, v61
	s_waitcnt lgkmcnt(0)
	; wave barrier
	ds_write2_b32 v70, v25, v27 offset0:34 offset1:51
	v_pack_b32_f16 v25, v71, v31
	v_pack_b32_f16 v26, v26, v28
	v_add_f16_e32 v45, v45, v61
	v_fma_f16 v61, v47, s1, v46
	v_fma_f16 v46, v47, s0, v46
	v_pack_b32_f16 v47, v63, v67
	v_pack_b32_f16 v32, v68, v32
	ds_write2_b32 v70, v25, v26 offset0:68 offset1:85
	v_pack_b32_f16 v25, v30, v65
	v_pack_b32_f16 v26, v66, v37
	ds_write2_b32 v70, v47, v32 offset1:17
	ds_write2_b32 v105, v25, v26 offset0:102 offset1:119
	v_pack_b32_f16 v25, v34, v33
	ds_write_b32 v105, v25 offset:544
	v_pack_b32_f16 v25, v36, v48
	v_pack_b32_f16 v26, v69, v49
	ds_write2_b32 v106, v25, v26 offset0:153 offset1:170
	v_pack_b32_f16 v25, v35, v40
	ds_write_b32 v106, v25 offset:748
	v_pack_b32_f16 v25, v41, v52
	v_pack_b32_f16 v26, v76, v51
	;; [unrolled: 5-line block ×3, first 2 shown]
	v_add_u32_e32 v27, 0x200, v108
	ds_write2_b32 v27, v25, v26 offset0:127 offset1:144
	v_pack_b32_f16 v25, v53, v42
	ds_write_b32 v108, v25 offset:1156
	v_pack_b32_f16 v25, v43, v58
	v_pack_b32_f16 v26, v85, v57
	v_add_u32_e32 v27, 0x400, v109
	ds_write2_b32 v27, v25, v26 offset0:50 offset1:67
	v_pack_b32_f16 v25, v56, v44
	ds_write_b32 v109, v25 offset:1360
	v_pack_b32_f16 v25, v45, v60
	v_pack_b32_f16 v26, v93, v61
	v_add_u32_e32 v27, 0x400, v110
	ds_write2_b32 v27, v25, v26 offset0:101 offset1:118
	v_pack_b32_f16 v25, v59, v46
	ds_write_b32 v110, v25 offset:1564
	s_waitcnt lgkmcnt(0)
	; wave barrier
	s_waitcnt lgkmcnt(0)
	ds_read2_b32 v[25:26], v70 offset1:17
	ds_read2_b32 v[27:28], v70 offset0:34 offset1:51
	ds_read2_b32 v[29:30], v70 offset0:102 offset1:119
	;; [unrolled: 1-line block ×7, first 2 shown]
	s_waitcnt lgkmcnt(6)
	v_lshrrev_b32_e32 v50, 16, v28
	v_mul_f16_sdwa v85, v0, v50 dst_sel:DWORD dst_unused:UNUSED_PAD src0_sel:WORD_1 src1_sel:DWORD
	s_waitcnt lgkmcnt(5)
	v_lshrrev_b32_e32 v51, 16, v29
	v_fma_f16 v85, v0, v28, v85
	v_mul_f16_sdwa v28, v0, v28 dst_sel:DWORD dst_unused:UNUSED_PAD src0_sel:WORD_1 src1_sel:DWORD
	v_fma_f16 v0, v0, v50, -v28
	v_mul_f16_sdwa v28, v1, v51 dst_sel:DWORD dst_unused:UNUSED_PAD src0_sel:WORD_1 src1_sel:DWORD
	s_waitcnt lgkmcnt(4)
	v_lshrrev_b32_e32 v52, 16, v32
	v_fma_f16 v28, v1, v29, v28
	v_mul_f16_sdwa v29, v1, v29 dst_sel:DWORD dst_unused:UNUSED_PAD src0_sel:WORD_1 src1_sel:DWORD
	v_fma_f16 v1, v1, v51, -v29
	;; [unrolled: 6-line block ×3, first 2 shown]
	v_mul_f16_sdwa v32, v3, v53 dst_sel:DWORD dst_unused:UNUSED_PAD src0_sel:WORD_1 src1_sel:DWORD
	s_waitcnt lgkmcnt(2)
	v_lshrrev_b32_e32 v54, 16, v36
	v_fma_f16 v32, v3, v33, v32
	v_mul_f16_sdwa v33, v3, v33 dst_sel:DWORD dst_unused:UNUSED_PAD src0_sel:WORD_1 src1_sel:DWORD
	ds_read2_b32 v[41:42], v70 offset0:68 offset1:85
	v_fma_f16 v3, v3, v53, -v33
	v_mul_f16_sdwa v33, v12, v54 dst_sel:DWORD dst_unused:UNUSED_PAD src0_sel:WORD_1 src1_sel:DWORD
	s_waitcnt lgkmcnt(2)
	v_lshrrev_b32_e32 v55, 16, v37
	v_fma_f16 v33, v12, v36, v33
	v_mul_f16_sdwa v36, v12, v36 dst_sel:DWORD dst_unused:UNUSED_PAD src0_sel:WORD_1 src1_sel:DWORD
	v_fma_f16 v12, v12, v54, -v36
	v_mul_f16_sdwa v36, v13, v55 dst_sel:DWORD dst_unused:UNUSED_PAD src0_sel:WORD_1 src1_sel:DWORD
	s_waitcnt lgkmcnt(1)
	v_lshrrev_b32_e32 v56, 16, v40
	v_fma_f16 v36, v13, v37, v36
	v_mul_f16_sdwa v37, v13, v37 dst_sel:DWORD dst_unused:UNUSED_PAD src0_sel:WORD_1 src1_sel:DWORD
	ds_read2_b32 v[43:44], v70 offset0:170 offset1:187
	v_fma_f16 v13, v13, v55, -v37
	v_mul_f16_sdwa v37, v14, v56 dst_sel:DWORD dst_unused:UNUSED_PAD src0_sel:WORD_1 src1_sel:DWORD
	s_waitcnt lgkmcnt(1)
	v_lshrrev_b32_e32 v58, 16, v41
	v_fma_f16 v37, v14, v40, v37
	v_mul_f16_sdwa v40, v14, v40 dst_sel:DWORD dst_unused:UNUSED_PAD src0_sel:WORD_1 src1_sel:DWORD
	v_fma_f16 v14, v14, v56, -v40
	v_mul_f16_sdwa v40, v4, v58 dst_sel:DWORD dst_unused:UNUSED_PAD src0_sel:WORD_1 src1_sel:DWORD
	v_lshrrev_b32_e32 v59, 16, v30
	v_fma_f16 v40, v4, v41, v40
	v_mul_f16_sdwa v41, v4, v41 dst_sel:DWORD dst_unused:UNUSED_PAD src0_sel:WORD_1 src1_sel:DWORD
	ds_read2_b32 v[45:46], v24 offset0:16 offset1:33
	v_fma_f16 v4, v4, v58, -v41
	v_mul_f16_sdwa v41, v5, v59 dst_sel:DWORD dst_unused:UNUSED_PAD src0_sel:WORD_1 src1_sel:DWORD
	s_waitcnt lgkmcnt(1)
	v_lshrrev_b32_e32 v60, 16, v43
	v_fma_f16 v41, v5, v30, v41
	v_mul_f16_sdwa v30, v5, v30 dst_sel:DWORD dst_unused:UNUSED_PAD src0_sel:WORD_1 src1_sel:DWORD
	v_fma_f16 v5, v5, v59, -v30
	v_mul_f16_sdwa v30, v6, v60 dst_sel:DWORD dst_unused:UNUSED_PAD src0_sel:WORD_1 src1_sel:DWORD
	;; [unrolled: 12-line block ×3, first 2 shown]
	v_lshrrev_b32_e32 v63, 16, v38
	v_fma_f16 v34, v15, v45, v34
	v_mul_f16_sdwa v45, v15, v45 dst_sel:DWORD dst_unused:UNUSED_PAD src0_sel:WORD_1 src1_sel:DWORD
	v_fma_f16 v15, v15, v62, -v45
	v_mul_f16_sdwa v45, v16, v63 dst_sel:DWORD dst_unused:UNUSED_PAD src0_sel:WORD_1 src1_sel:DWORD
	s_waitcnt lgkmcnt(0)
	v_lshrrev_b32_e32 v64, 16, v47
	v_fma_f16 v45, v16, v38, v45
	v_mul_f16_sdwa v38, v16, v38 dst_sel:DWORD dst_unused:UNUSED_PAD src0_sel:WORD_1 src1_sel:DWORD
	v_fma_f16 v16, v16, v63, -v38
	v_mul_f16_sdwa v38, v17, v64 dst_sel:DWORD dst_unused:UNUSED_PAD src0_sel:WORD_1 src1_sel:DWORD
	v_lshrrev_b32_e32 v66, 16, v42
	v_fma_f16 v38, v17, v47, v38
	v_mul_f16_sdwa v47, v17, v47 dst_sel:DWORD dst_unused:UNUSED_PAD src0_sel:WORD_1 src1_sel:DWORD
	v_fma_f16 v17, v17, v64, -v47
	v_mul_f16_sdwa v47, v8, v66 dst_sel:DWORD dst_unused:UNUSED_PAD src0_sel:WORD_1 src1_sel:DWORD
	;; [unrolled: 5-line block ×7, first 2 shown]
	v_lshrrev_b32_e32 v49, 16, v25
	v_lshrrev_b32_e32 v81, 16, v48
	v_fma_f16 v46, v19, v39, v46
	v_mul_f16_sdwa v39, v19, v39 dst_sel:DWORD dst_unused:UNUSED_PAD src0_sel:WORD_1 src1_sel:DWORD
	v_fma_f16 v19, v19, v76, -v39
	v_mul_f16_sdwa v39, v20, v81 dst_sel:DWORD dst_unused:UNUSED_PAD src0_sel:WORD_1 src1_sel:DWORD
	v_sub_f16_e32 v32, v25, v32
	v_sub_f16_e32 v3, v49, v3
	v_sub_f16_e32 v36, v28, v36
	v_sub_f16_e32 v13, v1, v13
	v_sub_f16_e32 v33, v85, v33
	v_sub_f16_e32 v12, v0, v12
	v_sub_f16_e32 v37, v29, v37
	v_sub_f16_e32 v14, v2, v14
	v_fma_f16 v39, v20, v48, v39
	v_mul_f16_sdwa v48, v20, v48 dst_sel:DWORD dst_unused:UNUSED_PAD src0_sel:WORD_1 src1_sel:DWORD
	v_fma_f16 v28, v28, 2.0, -v36
	v_fma_f16 v1, v1, 2.0, -v13
	;; [unrolled: 1-line block ×4, first 2 shown]
	v_add_f16_e32 v13, v32, v13
	v_sub_f16_e32 v36, v3, v36
	v_add_f16_e32 v14, v33, v14
	v_sub_f16_e32 v37, v12, v37
	v_fma_f16 v20, v20, v81, -v48
	v_fma_f16 v25, v25, 2.0, -v32
	v_fma_f16 v48, v49, 2.0, -v3
	;; [unrolled: 1-line block ×8, first 2 shown]
	s_mov_b32 s0, 0xb9a8
	v_lshrrev_b32_e32 v57, 16, v26
	v_fma_f16 v50, v33, s0, v32
	v_fma_f16 v51, v12, s0, v3
	s_movk_i32 s1, 0x39a8
	v_sub_f16_e32 v28, v25, v28
	v_sub_f16_e32 v1, v48, v1
	;; [unrolled: 1-line block ×4, first 2 shown]
	v_fma_f16 v12, v12, s1, v50
	v_fma_f16 v33, v33, s0, v51
	;; [unrolled: 1-line block ×4, first 2 shown]
	v_sub_f16_e32 v43, v26, v43
	v_sub_f16_e32 v7, v57, v7
	;; [unrolled: 1-line block ×8, first 2 shown]
	v_fma_f16 v49, v49, 2.0, -v29
	v_fma_f16 v0, v0, 2.0, -v2
	v_add_f16_e32 v2, v28, v2
	v_sub_f16_e32 v29, v1, v29
	v_fma_f16 v37, v37, s1, v50
	v_fma_f16 v14, v14, s0, v51
	v_fma_f16 v26, v26, 2.0, -v43
	v_fma_f16 v50, v57, 2.0, -v7
	;; [unrolled: 1-line block ×14, first 2 shown]
	v_sub_f16_e32 v41, v26, v41
	v_sub_f16_e32 v5, v50, v5
	v_add_f16_e32 v16, v43, v16
	v_sub_f16_e32 v45, v7, v45
	v_sub_f16_e32 v30, v40, v30
	;; [unrolled: 1-line block ×3, first 2 shown]
	v_add_f16_e32 v17, v34, v17
	v_sub_f16_e32 v38, v15, v38
	v_sub_f16_e32 v49, v25, v49
	;; [unrolled: 1-line block ×3, first 2 shown]
	v_fma_f16 v26, v26, 2.0, -v41
	v_fma_f16 v50, v50, 2.0, -v5
	;; [unrolled: 1-line block ×8, first 2 shown]
	v_pack_b32_f16 v1, v28, v1
	v_pack_b32_f16 v13, v13, v36
	v_lshrrev_b32_e32 v65, 16, v27
	v_fma_f16 v48, v48, 2.0, -v0
	v_sub_f16_e32 v40, v26, v40
	v_sub_f16_e32 v4, v50, v4
	v_fma_f16 v51, v34, s0, v43
	v_fma_f16 v52, v15, s0, v7
	ds_write2_b32 v70, v1, v13 offset0:102 offset1:153
	v_pack_b32_f16 v0, v49, v0
	v_pack_b32_f16 v1, v12, v33
	v_fma_f16 v25, v25, 2.0, -v49
	v_fma_f16 v26, v26, 2.0, -v40
	;; [unrolled: 1-line block ×3, first 2 shown]
	v_fma_f16 v15, v15, s1, v51
	v_fma_f16 v34, v34, s0, v52
	v_add_f16_e32 v6, v41, v6
	v_sub_f16_e32 v30, v5, v30
	v_fma_f16 v51, v17, s1, v16
	v_fma_f16 v52, v38, s1, v45
	v_sub_f16_e32 v44, v27, v44
	v_sub_f16_e32 v11, v65, v11
	;; [unrolled: 1-line block ×8, first 2 shown]
	ds_write2_b32 v70, v0, v1 offset0:204 offset1:255
	v_pack_b32_f16 v0, v2, v29
	v_pack_b32_f16 v1, v37, v14
	v_fma_f16 v43, v43, 2.0, -v15
	v_fma_f16 v7, v7, 2.0, -v34
	;; [unrolled: 1-line block ×4, first 2 shown]
	v_fma_f16 v38, v38, s1, v51
	v_fma_f16 v17, v17, s0, v52
	v_fma_f16 v27, v27, 2.0, -v44
	v_fma_f16 v51, v65, 2.0, -v11
	;; [unrolled: 1-line block ×8, first 2 shown]
	v_pack_b32_f16 v25, v25, v48
	ds_write2_b32 v24, v0, v1 offset0:50 offset1:101
	v_pack_b32_f16 v0, v26, v50
	v_fma_f16 v16, v16, 2.0, -v38
	v_fma_f16 v45, v45, 2.0, -v17
	v_sub_f16_e32 v42, v27, v42
	v_sub_f16_e32 v9, v51, v9
	v_add_f16_e32 v19, v44, v19
	v_sub_f16_e32 v46, v11, v46
	v_sub_f16_e32 v31, v47, v31
	;; [unrolled: 1-line block ×3, first 2 shown]
	v_add_f16_e32 v20, v35, v20
	v_sub_f16_e32 v39, v18, v39
	ds_write2_b32 v70, v25, v0 offset1:17
	v_pack_b32_f16 v0, v43, v7
	v_pack_b32_f16 v1, v41, v5
	v_fma_f16 v27, v27, 2.0, -v42
	v_fma_f16 v51, v51, 2.0, -v9
	;; [unrolled: 1-line block ×8, first 2 shown]
	ds_write2_b32 v114, v0, v1 offset0:51 offset1:102
	v_pack_b32_f16 v0, v16, v45
	v_pack_b32_f16 v1, v40, v4
	v_sub_f16_e32 v47, v27, v47
	v_sub_f16_e32 v8, v51, v8
	v_fma_f16 v52, v35, s0, v44
	v_fma_f16 v53, v18, s0, v11
	ds_write2_b32 v114, v0, v1 offset0:153 offset1:204
	v_pack_b32_f16 v0, v15, v34
	v_pack_b32_f16 v1, v6, v30
	v_add_u32_e32 v2, 0x200, v114
	v_fma_f16 v32, v32, 2.0, -v12
	v_fma_f16 v3, v3, 2.0, -v33
	;; [unrolled: 1-line block ×4, first 2 shown]
	v_fma_f16 v18, v18, s1, v52
	v_fma_f16 v35, v35, s0, v53
	v_add_f16_e32 v10, v42, v10
	v_sub_f16_e32 v31, v9, v31
	v_fma_f16 v52, v20, s1, v19
	v_fma_f16 v53, v39, s1, v46
	ds_write2_b32 v2, v0, v1 offset0:127 offset1:178
	v_pack_b32_f16 v0, v38, v17
	v_fma_f16 v44, v44, 2.0, -v18
	v_fma_f16 v11, v11, 2.0, -v35
	;; [unrolled: 1-line block ×4, first 2 shown]
	v_fma_f16 v39, v39, s1, v52
	v_fma_f16 v20, v20, s0, v53
	v_pack_b32_f16 v3, v32, v3
	ds_write_b32 v114, v0 offset:1428
	v_pack_b32_f16 v0, v27, v51
	v_fma_f16 v19, v19, 2.0, -v39
	v_fma_f16 v46, v46, 2.0, -v20
	ds_write2_b32 v70, v0, v3 offset0:34 offset1:51
	v_pack_b32_f16 v0, v44, v11
	v_pack_b32_f16 v1, v42, v9
	ds_write2_b32 v113, v0, v1 offset0:51 offset1:102
	v_pack_b32_f16 v0, v19, v46
	v_pack_b32_f16 v1, v47, v8
	ds_write2_b32 v113, v0, v1 offset0:153 offset1:204
	v_pack_b32_f16 v0, v18, v35
	v_pack_b32_f16 v1, v10, v31
	v_add_u32_e32 v2, 0x200, v113
	ds_write2_b32 v2, v0, v1 offset0:127 offset1:178
	v_pack_b32_f16 v0, v39, v20
	ds_write_b32 v113, v0 offset:1428
	s_waitcnt lgkmcnt(0)
	; wave barrier
	s_waitcnt lgkmcnt(0)
	ds_read2_b32 v[0:1], v70 offset1:24
	s_mov_b32 s12, 0x14141414
	s_mov_b32 s13, 0x3f641414
	v_mad_u64_u32 v[3:4], s[0:1], s10, v23, 0
	s_waitcnt lgkmcnt(0)
	v_lshrrev_b32_e32 v9, 16, v0
	v_mul_f16_sdwa v2, v92, v9 dst_sel:DWORD dst_unused:UNUSED_PAD src0_sel:WORD_1 src1_sel:DWORD
	v_fma_f16 v2, v92, v0, v2
	v_cvt_f32_f16_e32 v2, v2
	s_movk_i32 s15, 0x1ff
	s_movk_i32 s10, 0xffe
	v_mul_f16_sdwa v0, v92, v0 dst_sel:DWORD dst_unused:UNUSED_PAD src0_sel:WORD_1 src1_sel:DWORD
	v_cvt_f64_f32_e32 v[5:6], v2
	v_mov_b32_e32 v2, v4
	v_mad_u64_u32 v[7:8], s[0:1], s11, v23, v[2:3]
	v_mul_f64 v[5:6], v[5:6], s[12:13]
	v_fma_f16 v0, v92, v9, -v0
	v_mov_b32_e32 v4, v7
	v_cvt_f32_f16_e32 v0, v0
	s_movk_i32 s11, 0x40f
	s_mov_b32 s14, 0x8000
	v_lshlrev_b64 v[3:4], 2, v[3:4]
	buffer_load_dword v16, off, s[40:43], 0 offset:12 ; 4-byte Folded Reload
	v_and_or_b32 v2, v6, s15, v5
	v_cmp_ne_u32_e64 s[0:1], 0, v2
	v_cndmask_b32_e64 v2, 0, 1, s[0:1]
	v_lshrrev_b32_e32 v5, 8, v6
	v_bfe_u32 v7, v6, 20, 11
	v_and_or_b32 v5, v5, s10, v2
	v_sub_u32_e32 v8, 0x3f1, v7
	v_or_b32_e32 v2, 0x1000, v5
	v_med3_i32 v8, v8, 0, 13
	v_lshrrev_b32_e32 v10, v8, v2
	v_lshlrev_b32_e32 v8, v8, v10
	v_cmp_ne_u32_e64 s[0:1], v8, v2
	v_cndmask_b32_e64 v2, 0, 1, s[0:1]
	v_or_b32_e32 v2, v10, v2
	v_add_u32_e32 v10, 0xfffffc10, v7
	v_lshl_or_b32 v7, v10, 12, v5
	v_cmp_gt_i32_e64 s[0:1], 1, v10
	v_cndmask_b32_e64 v2, v7, v2, s[0:1]
	v_and_b32_e32 v7, 7, v2
	v_cmp_lt_i32_e64 s[0:1], 5, v7
	v_cmp_eq_u32_e64 s[2:3], 3, v7
	v_cvt_f64_f32_e32 v[7:8], v0
	v_lshrrev_b32_e32 v2, 2, v2
	s_or_b64 s[0:1], s[2:3], s[0:1]
	v_addc_co_u32_e64 v9, s[0:1], 0, v2, s[0:1]
	v_mul_f64 v[7:8], v[7:8], s[12:13]
	v_mov_b32_e32 v2, 0x7c00
	v_cmp_gt_i32_e64 s[0:1], 31, v10
	v_cndmask_b32_e64 v0, v2, v9, s[0:1]
	v_cmp_ne_u32_e64 s[0:1], 0, v5
	v_cndmask_b32_e64 v5, 0, 1, s[0:1]
	v_lshl_or_b32 v5, v5, 9, v2
	v_cmp_eq_u32_e64 s[0:1], s11, v10
	v_cndmask_b32_e64 v0, v0, v5, s[0:1]
	v_lshrrev_b32_e32 v5, 16, v6
	v_and_or_b32 v9, v5, s14, v0
	v_and_or_b32 v0, v8, s15, v7
	v_cmp_ne_u32_e64 s[0:1], 0, v0
	v_cndmask_b32_e64 v0, 0, 1, s[0:1]
	v_lshrrev_b32_e32 v5, 8, v8
	v_bfe_u32 v6, v8, 20, 11
	v_and_or_b32 v0, v5, s10, v0
	v_sub_u32_e32 v7, 0x3f1, v6
	v_or_b32_e32 v5, 0x1000, v0
	v_med3_i32 v7, v7, 0, 13
	v_lshrrev_b32_e32 v10, v7, v5
	v_lshlrev_b32_e32 v7, v7, v10
	v_cmp_ne_u32_e64 s[0:1], v7, v5
	v_cndmask_b32_e64 v5, 0, 1, s[0:1]
	v_add_u32_e32 v7, 0xfffffc10, v6
	v_or_b32_e32 v5, v10, v5
	v_lshl_or_b32 v6, v7, 12, v0
	v_cmp_gt_i32_e64 s[0:1], 1, v7
	v_cndmask_b32_e64 v5, v6, v5, s[0:1]
	v_and_b32_e32 v6, 7, v5
	v_cmp_lt_i32_e64 s[0:1], 5, v6
	v_cmp_eq_u32_e64 s[2:3], 3, v6
	v_lshrrev_b32_e32 v5, 2, v5
	s_or_b64 s[0:1], s[2:3], s[0:1]
	v_addc_co_u32_e64 v5, s[0:1], 0, v5, s[0:1]
	v_cmp_gt_i32_e64 s[0:1], 31, v7
	v_cndmask_b32_e64 v10, v2, v5, s[0:1]
	v_cmp_ne_u32_e64 s[0:1], 0, v0
	v_cndmask_b32_e64 v0, 0, 1, s[0:1]
	v_mad_u64_u32 v[5:6], s[0:1], s8, v90, 0
	v_lshl_or_b32 v0, v0, 9, v2
	v_cmp_eq_u32_e64 s[0:1], s11, v7
	v_cndmask_b32_e64 v10, v10, v0, s[0:1]
	v_mov_b32_e32 v0, v6
	v_mad_u64_u32 v[6:7], s[0:1], s9, v90, v[0:1]
	v_lshrrev_b32_e32 v0, 16, v1
	v_mul_f16_sdwa v7, v91, v0 dst_sel:DWORD dst_unused:UNUSED_PAD src0_sel:WORD_1 src1_sel:DWORD
	v_fma_f16 v7, v91, v1, v7
	v_cvt_f32_f16_e32 v7, v7
	v_lshrrev_b32_e32 v8, 16, v8
	v_and_or_b32 v10, v8, s14, v10
	v_and_b32_e32 v9, 0xffff, v9
	v_cvt_f64_f32_e32 v[7:8], v7
	v_lshl_or_b32 v9, v10, 16, v9
	v_mov_b32_e32 v10, s7
	v_add_co_u32_e64 v3, s[0:1], s6, v3
	v_mul_f64 v[7:8], v[7:8], s[12:13]
	v_lshlrev_b64 v[5:6], 2, v[5:6]
	v_addc_co_u32_e64 v4, s[0:1], v10, v4, s[0:1]
	v_add_co_u32_e64 v5, s[0:1], v3, v5
	v_addc_co_u32_e64 v6, s[0:1], v4, v6, s[0:1]
	v_and_or_b32 v7, v8, s15, v7
	v_mul_f16_sdwa v1, v91, v1 dst_sel:DWORD dst_unused:UNUSED_PAD src0_sel:WORD_1 src1_sel:DWORD
	v_cmp_ne_u32_e64 s[0:1], 0, v7
	v_fma_f16 v0, v91, v0, -v1
	global_store_dword v[5:6], v9, off
	v_cndmask_b32_e64 v7, 0, 1, s[0:1]
	v_lshrrev_b32_e32 v9, 8, v8
	v_bfe_u32 v10, v8, 20, 11
	v_cvt_f32_f16_e32 v0, v0
	v_and_or_b32 v7, v9, s10, v7
	v_sub_u32_e32 v11, 0x3f1, v10
	v_or_b32_e32 v9, 0x1000, v7
	v_med3_i32 v11, v11, 0, 13
	v_lshrrev_b32_e32 v12, v11, v9
	v_lshlrev_b32_e32 v11, v11, v12
	v_cvt_f64_f32_e32 v[0:1], v0
	v_cmp_ne_u32_e64 s[0:1], v11, v9
	v_cndmask_b32_e64 v9, 0, 1, s[0:1]
	v_add_u32_e32 v10, 0xfffffc10, v10
	v_or_b32_e32 v9, v12, v9
	v_lshl_or_b32 v11, v10, 12, v7
	v_cmp_gt_i32_e64 s[0:1], 1, v10
	v_cndmask_b32_e64 v9, v11, v9, s[0:1]
	v_mul_f64 v[0:1], v[0:1], s[12:13]
	v_and_b32_e32 v11, 7, v9
	v_cmp_lt_i32_e64 s[0:1], 5, v11
	v_cmp_eq_u32_e64 s[2:3], 3, v11
	v_lshrrev_b32_e32 v9, 2, v9
	s_or_b64 s[0:1], s[2:3], s[0:1]
	v_addc_co_u32_e64 v9, s[0:1], 0, v9, s[0:1]
	v_cmp_gt_i32_e64 s[0:1], 31, v10
	v_cndmask_b32_e64 v9, v2, v9, s[0:1]
	v_cmp_ne_u32_e64 s[0:1], 0, v7
	v_cndmask_b32_e64 v7, 0, 1, s[0:1]
	v_lshl_or_b32 v7, v7, 9, v2
	v_cmp_eq_u32_e64 s[0:1], s11, v10
	v_and_or_b32 v0, v1, s15, v0
	v_cndmask_b32_e64 v7, v9, v7, s[0:1]
	v_lshrrev_b32_e32 v8, 16, v8
	v_cmp_ne_u32_e64 s[0:1], 0, v0
	v_and_or_b32 v9, v8, s14, v7
	v_cndmask_b32_e64 v0, 0, 1, s[0:1]
	v_lshrrev_b32_e32 v7, 8, v1
	v_bfe_u32 v8, v1, 20, 11
	v_and_or_b32 v0, v7, s10, v0
	v_sub_u32_e32 v10, 0x3f1, v8
	v_or_b32_e32 v7, 0x1000, v0
	v_med3_i32 v10, v10, 0, 13
	v_lshrrev_b32_e32 v11, v10, v7
	v_lshlrev_b32_e32 v10, v10, v11
	v_cmp_ne_u32_e64 s[0:1], v10, v7
	v_cndmask_b32_e64 v7, 0, 1, s[0:1]
	v_add_u32_e32 v10, 0xfffffc10, v8
	v_or_b32_e32 v7, v11, v7
	v_lshl_or_b32 v8, v10, 12, v0
	v_cmp_gt_i32_e64 s[0:1], 1, v10
	v_cndmask_b32_e64 v7, v8, v7, s[0:1]
	v_and_b32_e32 v8, 7, v7
	v_cmp_lt_i32_e64 s[0:1], 5, v8
	v_cmp_eq_u32_e64 s[2:3], 3, v8
	v_lshrrev_b32_e32 v7, 2, v7
	s_or_b64 s[0:1], s[2:3], s[0:1]
	v_addc_co_u32_e64 v7, s[0:1], 0, v7, s[0:1]
	v_cmp_gt_i32_e64 s[0:1], 31, v10
	v_cndmask_b32_e64 v11, v2, v7, s[0:1]
	ds_read2_b32 v[7:8], v70 offset0:48 offset1:72
	v_cmp_ne_u32_e64 s[0:1], 0, v0
	v_cndmask_b32_e64 v0, 0, 1, s[0:1]
	v_lshl_or_b32 v0, v0, 9, v2
	v_cmp_eq_u32_e64 s[0:1], s11, v10
	v_cndmask_b32_e64 v0, v11, v0, s[0:1]
	v_lshrrev_b32_e32 v1, 16, v1
	s_waitcnt lgkmcnt(0)
	v_lshrrev_b32_e32 v11, 16, v7
	v_and_or_b32 v10, v1, s14, v0
	v_mul_f16_sdwa v0, v89, v11 dst_sel:DWORD dst_unused:UNUSED_PAD src0_sel:WORD_1 src1_sel:DWORD
	v_fma_f16 v0, v89, v7, v0
	v_cvt_f32_f16_e32 v0, v0
	v_and_b32_e32 v9, 0xffff, v9
	v_lshl_or_b32 v12, v10, 16, v9
	s_mul_i32 s0, s9, 24
	v_cvt_f64_f32_e32 v[0:1], v0
	s_mul_hi_u32 s1, s8, 24
	s_add_i32 s1, s1, s0
	s_mul_i32 s0, s8, 24
	v_mul_f64 v[9:10], v[0:1], s[12:13]
	s_lshl_b64 s[6:7], s[0:1], 2
	v_mov_b32_e32 v1, s7
	v_add_co_u32_e64 v5, s[0:1], s6, v5
	v_addc_co_u32_e64 v6, s[0:1], v6, v1, s[0:1]
	global_store_dword v[5:6], v12, off
	v_and_or_b32 v0, v10, s15, v9
	v_cmp_ne_u32_e64 s[0:1], 0, v0
	v_cndmask_b32_e64 v0, 0, 1, s[0:1]
	v_lshrrev_b32_e32 v9, 8, v10
	v_bfe_u32 v12, v10, 20, 11
	v_and_or_b32 v0, v9, s10, v0
	v_sub_u32_e32 v13, 0x3f1, v12
	v_or_b32_e32 v9, 0x1000, v0
	v_med3_i32 v13, v13, 0, 13
	v_lshrrev_b32_e32 v14, v13, v9
	v_lshlrev_b32_e32 v13, v13, v14
	v_mul_f16_sdwa v7, v89, v7 dst_sel:DWORD dst_unused:UNUSED_PAD src0_sel:WORD_1 src1_sel:DWORD
	v_cmp_ne_u32_e64 s[0:1], v13, v9
	v_fma_f16 v7, v89, v11, -v7
	v_cndmask_b32_e64 v9, 0, 1, s[0:1]
	v_add_u32_e32 v13, 0xfffffc10, v12
	v_cvt_f32_f16_e32 v7, v7
	v_or_b32_e32 v9, v14, v9
	v_lshl_or_b32 v12, v13, 12, v0
	v_cmp_gt_i32_e64 s[0:1], 1, v13
	v_cndmask_b32_e64 v9, v12, v9, s[0:1]
	v_and_b32_e32 v12, 7, v9
	v_cmp_lt_i32_e64 s[0:1], 5, v12
	v_cmp_eq_u32_e64 s[2:3], 3, v12
	v_cvt_f64_f32_e32 v[11:12], v7
	v_lshrrev_b32_e32 v9, 2, v9
	s_or_b64 s[0:1], s[2:3], s[0:1]
	v_addc_co_u32_e64 v7, s[0:1], 0, v9, s[0:1]
	v_mul_f64 v[11:12], v[11:12], s[12:13]
	v_cmp_gt_i32_e64 s[0:1], 31, v13
	v_cndmask_b32_e64 v7, v2, v7, s[0:1]
	v_cmp_ne_u32_e64 s[0:1], 0, v0
	v_cndmask_b32_e64 v0, 0, 1, s[0:1]
	v_lshl_or_b32 v0, v0, 9, v2
	v_cmp_eq_u32_e64 s[0:1], s11, v13
	v_cndmask_b32_e64 v0, v7, v0, s[0:1]
	v_lshrrev_b32_e32 v7, 16, v10
	v_and_or_b32 v0, v7, s14, v0
	v_and_or_b32 v7, v12, s15, v11
	v_cmp_ne_u32_e64 s[0:1], 0, v7
	v_cndmask_b32_e64 v7, 0, 1, s[0:1]
	v_lshrrev_b32_e32 v9, 8, v12
	v_bfe_u32 v10, v12, 20, 11
	v_and_or_b32 v7, v9, s10, v7
	v_sub_u32_e32 v11, 0x3f1, v10
	v_or_b32_e32 v9, 0x1000, v7
	v_med3_i32 v11, v11, 0, 13
	v_lshrrev_b32_e32 v13, v11, v9
	v_lshlrev_b32_e32 v11, v11, v13
	v_cmp_ne_u32_e64 s[0:1], v11, v9
	v_cndmask_b32_e64 v9, 0, 1, s[0:1]
	v_add_u32_e32 v11, 0xfffffc10, v10
	v_or_b32_e32 v9, v13, v9
	v_lshl_or_b32 v10, v11, 12, v7
	v_cmp_gt_i32_e64 s[0:1], 1, v11
	v_cndmask_b32_e64 v9, v10, v9, s[0:1]
	v_and_b32_e32 v10, 7, v9
	v_cmp_lt_i32_e64 s[0:1], 5, v10
	v_cmp_eq_u32_e64 s[2:3], 3, v10
	v_lshrrev_b32_e32 v9, 2, v9
	s_or_b64 s[0:1], s[2:3], s[0:1]
	v_addc_co_u32_e64 v9, s[0:1], 0, v9, s[0:1]
	v_cmp_gt_i32_e64 s[0:1], 31, v11
	v_lshrrev_b32_e32 v14, 16, v8
	v_cndmask_b32_e64 v13, v2, v9, s[0:1]
	v_mul_f16_sdwa v9, v88, v14 dst_sel:DWORD dst_unused:UNUSED_PAD src0_sel:WORD_1 src1_sel:DWORD
	v_fma_f16 v9, v88, v8, v9
	v_cvt_f32_f16_e32 v9, v9
	v_cmp_ne_u32_e64 s[0:1], 0, v7
	v_cndmask_b32_e64 v7, 0, 1, s[0:1]
	v_lshl_or_b32 v7, v7, 9, v2
	v_cvt_f64_f32_e32 v[9:10], v9
	v_cmp_eq_u32_e64 s[0:1], s11, v11
	v_cndmask_b32_e64 v7, v13, v7, s[0:1]
	v_lshrrev_b32_e32 v11, 16, v12
	v_mul_f64 v[9:10], v[9:10], s[12:13]
	v_and_or_b32 v7, v11, s14, v7
	v_and_b32_e32 v0, 0xffff, v0
	v_add_co_u32_e64 v5, s[0:1], s6, v5
	v_lshl_or_b32 v0, v7, 16, v0
	v_addc_co_u32_e64 v6, s[0:1], v6, v1, s[0:1]
	global_store_dword v[5:6], v0, off
	v_and_or_b32 v0, v10, s15, v9
	v_cmp_ne_u32_e64 s[0:1], 0, v0
	v_cndmask_b32_e64 v0, 0, 1, s[0:1]
	v_lshrrev_b32_e32 v7, 8, v10
	v_bfe_u32 v9, v10, 20, 11
	v_and_or_b32 v0, v7, s10, v0
	v_sub_u32_e32 v11, 0x3f1, v9
	v_or_b32_e32 v7, 0x1000, v0
	v_med3_i32 v11, v11, 0, 13
	v_lshrrev_b32_e32 v12, v11, v7
	v_lshlrev_b32_e32 v11, v11, v12
	v_mul_f16_sdwa v8, v88, v8 dst_sel:DWORD dst_unused:UNUSED_PAD src0_sel:WORD_1 src1_sel:DWORD
	v_cmp_ne_u32_e64 s[0:1], v11, v7
	v_fma_f16 v8, v88, v14, -v8
	v_cndmask_b32_e64 v7, 0, 1, s[0:1]
	v_add_u32_e32 v9, 0xfffffc10, v9
	v_cvt_f32_f16_e32 v8, v8
	v_or_b32_e32 v7, v12, v7
	v_lshl_or_b32 v11, v9, 12, v0
	v_cmp_gt_i32_e64 s[0:1], 1, v9
	v_cndmask_b32_e64 v7, v11, v7, s[0:1]
	v_and_b32_e32 v11, 7, v7
	v_cmp_lt_i32_e64 s[0:1], 5, v11
	v_cmp_eq_u32_e64 s[2:3], 3, v11
	v_lshrrev_b32_e32 v11, 2, v7
	v_cvt_f64_f32_e32 v[7:8], v8
	s_or_b64 s[0:1], s[2:3], s[0:1]
	v_addc_co_u32_e64 v11, s[0:1], 0, v11, s[0:1]
	v_mul_f64 v[7:8], v[7:8], s[12:13]
	v_cmp_gt_i32_e64 s[0:1], 31, v9
	v_cndmask_b32_e64 v11, v2, v11, s[0:1]
	v_cmp_ne_u32_e64 s[0:1], 0, v0
	v_cndmask_b32_e64 v0, 0, 1, s[0:1]
	v_lshl_or_b32 v0, v0, 9, v2
	v_cmp_eq_u32_e64 s[0:1], s11, v9
	v_cndmask_b32_e64 v0, v11, v0, s[0:1]
	v_and_or_b32 v7, v8, s15, v7
	v_lshrrev_b32_e32 v9, 16, v10
	v_cmp_ne_u32_e64 s[0:1], 0, v7
	v_and_or_b32 v0, v9, s14, v0
	v_cndmask_b32_e64 v7, 0, 1, s[0:1]
	v_lshrrev_b32_e32 v9, 8, v8
	v_bfe_u32 v10, v8, 20, 11
	v_and_or_b32 v7, v9, s10, v7
	v_sub_u32_e32 v11, 0x3f1, v10
	v_or_b32_e32 v9, 0x1000, v7
	v_med3_i32 v11, v11, 0, 13
	v_lshrrev_b32_e32 v12, v11, v9
	v_lshlrev_b32_e32 v11, v11, v12
	v_cmp_ne_u32_e64 s[0:1], v11, v9
	v_cndmask_b32_e64 v9, 0, 1, s[0:1]
	v_add_u32_e32 v13, 0xfffffc10, v10
	v_or_b32_e32 v9, v12, v9
	v_lshl_or_b32 v10, v13, 12, v7
	v_cmp_gt_i32_e64 s[0:1], 1, v13
	v_cndmask_b32_e64 v9, v10, v9, s[0:1]
	v_and_b32_e32 v10, 7, v9
	v_cmp_lt_i32_e64 s[0:1], 5, v10
	v_cmp_eq_u32_e64 s[2:3], 3, v10
	v_lshrrev_b32_e32 v11, 2, v9
	ds_read2_b32 v[9:10], v70 offset0:96 offset1:120
	s_or_b64 s[0:1], s[2:3], s[0:1]
	v_addc_co_u32_e64 v11, s[0:1], 0, v11, s[0:1]
	v_cmp_gt_i32_e64 s[0:1], 31, v13
	s_waitcnt lgkmcnt(0)
	v_lshrrev_b32_e32 v15, 16, v9
	v_cndmask_b32_e64 v14, v2, v11, s[0:1]
	v_mul_f16_sdwa v11, v87, v15 dst_sel:DWORD dst_unused:UNUSED_PAD src0_sel:WORD_1 src1_sel:DWORD
	v_fma_f16 v11, v87, v9, v11
	v_cvt_f32_f16_e32 v11, v11
	v_cmp_ne_u32_e64 s[0:1], 0, v7
	v_cndmask_b32_e64 v7, 0, 1, s[0:1]
	v_lshl_or_b32 v7, v7, 9, v2
	v_cvt_f64_f32_e32 v[11:12], v11
	v_cmp_eq_u32_e64 s[0:1], s11, v13
	v_cndmask_b32_e64 v7, v14, v7, s[0:1]
	v_lshrrev_b32_e32 v8, 16, v8
	v_and_or_b32 v13, v8, s14, v7
	v_mul_f64 v[7:8], v[11:12], s[12:13]
	v_and_b32_e32 v0, 0xffff, v0
	v_add_co_u32_e64 v5, s[0:1], s6, v5
	v_lshl_or_b32 v0, v13, 16, v0
	v_addc_co_u32_e64 v6, s[0:1], v6, v1, s[0:1]
	global_store_dword v[5:6], v0, off
	v_and_or_b32 v0, v8, s15, v7
	v_cmp_ne_u32_e64 s[0:1], 0, v0
	v_cndmask_b32_e64 v0, 0, 1, s[0:1]
	v_lshrrev_b32_e32 v7, 8, v8
	v_bfe_u32 v11, v8, 20, 11
	v_and_or_b32 v0, v7, s10, v0
	v_sub_u32_e32 v12, 0x3f1, v11
	v_or_b32_e32 v7, 0x1000, v0
	v_med3_i32 v12, v12, 0, 13
	v_lshrrev_b32_e32 v13, v12, v7
	v_lshlrev_b32_e32 v12, v12, v13
	v_cmp_ne_u32_e64 s[0:1], v12, v7
	v_mul_f16_sdwa v9, v87, v9 dst_sel:DWORD dst_unused:UNUSED_PAD src0_sel:WORD_1 src1_sel:DWORD
	v_cndmask_b32_e64 v7, 0, 1, s[0:1]
	v_fma_f16 v9, v87, v15, -v9
	v_or_b32_e32 v7, v13, v7
	v_add_u32_e32 v13, 0xfffffc10, v11
	v_cvt_f32_f16_e32 v9, v9
	v_lshl_or_b32 v11, v13, 12, v0
	v_cmp_gt_i32_e64 s[0:1], 1, v13
	v_cndmask_b32_e64 v7, v11, v7, s[0:1]
	v_and_b32_e32 v11, 7, v7
	v_cmp_lt_i32_e64 s[0:1], 5, v11
	v_cmp_eq_u32_e64 s[2:3], 3, v11
	v_cvt_f64_f32_e32 v[11:12], v9
	v_lshrrev_b32_e32 v7, 2, v7
	s_or_b64 s[0:1], s[2:3], s[0:1]
	v_addc_co_u32_e64 v7, s[0:1], 0, v7, s[0:1]
	v_mul_f64 v[11:12], v[11:12], s[12:13]
	v_cmp_gt_i32_e64 s[0:1], 31, v13
	v_cndmask_b32_e64 v7, v2, v7, s[0:1]
	v_cmp_ne_u32_e64 s[0:1], 0, v0
	v_cndmask_b32_e64 v0, 0, 1, s[0:1]
	v_lshl_or_b32 v0, v0, 9, v2
	v_cmp_eq_u32_e64 s[0:1], s11, v13
	v_cndmask_b32_e64 v0, v7, v0, s[0:1]
	v_lshrrev_b32_e32 v7, 16, v8
	v_and_or_b32 v13, v7, s14, v0
	v_and_or_b32 v0, v12, s15, v11
	v_cmp_ne_u32_e64 s[0:1], 0, v0
	v_cndmask_b32_e64 v0, 0, 1, s[0:1]
	v_lshrrev_b32_e32 v7, 8, v12
	v_bfe_u32 v8, v12, 20, 11
	v_and_or_b32 v0, v7, s10, v0
	v_sub_u32_e32 v9, 0x3f1, v8
	v_or_b32_e32 v7, 0x1000, v0
	v_med3_i32 v9, v9, 0, 13
	v_lshrrev_b32_e32 v11, v9, v7
	v_lshlrev_b32_e32 v9, v9, v11
	v_cmp_ne_u32_e64 s[0:1], v9, v7
	v_cndmask_b32_e64 v7, 0, 1, s[0:1]
	v_add_u32_e32 v9, 0xfffffc10, v8
	v_or_b32_e32 v7, v11, v7
	v_lshl_or_b32 v8, v9, 12, v0
	v_cmp_gt_i32_e64 s[0:1], 1, v9
	v_cndmask_b32_e64 v7, v8, v7, s[0:1]
	v_and_b32_e32 v8, 7, v7
	v_cmp_lt_i32_e64 s[0:1], 5, v8
	v_cmp_eq_u32_e64 s[2:3], 3, v8
	v_lshrrev_b32_e32 v7, 2, v7
	s_or_b64 s[0:1], s[2:3], s[0:1]
	v_addc_co_u32_e64 v7, s[0:1], 0, v7, s[0:1]
	v_cmp_gt_i32_e64 s[0:1], 31, v9
	v_cndmask_b32_e64 v11, v2, v7, s[0:1]
	v_cmp_ne_u32_e64 s[0:1], 0, v0
	v_cndmask_b32_e64 v0, 0, 1, s[0:1]
	s_waitcnt vmcnt(4)
	v_mad_u64_u32 v[7:8], s[0:1], s8, v16, 0
	v_lshl_or_b32 v0, v0, 9, v2
	v_cmp_eq_u32_e64 s[0:1], s11, v9
	v_lshrrev_b32_e32 v15, 16, v10
	v_cndmask_b32_e64 v14, v11, v0, s[0:1]
	v_mov_b32_e32 v0, v8
	v_mul_f16_sdwa v8, v86, v15 dst_sel:DWORD dst_unused:UNUSED_PAD src0_sel:WORD_1 src1_sel:DWORD
	v_fma_f16 v8, v86, v10, v8
	v_cvt_f32_f16_e32 v11, v8
	v_mad_u64_u32 v[8:9], s[0:1], s9, v16, v[0:1]
	v_lshrrev_b32_e32 v0, 16, v12
	v_cvt_f64_f32_e32 v[11:12], v11
	v_lshlrev_b64 v[7:8], 2, v[7:8]
	v_and_or_b32 v0, v0, s14, v14
	v_and_b32_e32 v9, 0xffff, v13
	v_mul_f64 v[11:12], v[11:12], s[12:13]
	v_add_co_u32_e64 v7, s[0:1], v3, v7
	v_lshl_or_b32 v0, v0, 16, v9
	v_addc_co_u32_e64 v8, s[0:1], v4, v8, s[0:1]
	global_store_dword v[7:8], v0, off
	v_mul_f16_sdwa v10, v86, v10 dst_sel:DWORD dst_unused:UNUSED_PAD src0_sel:WORD_1 src1_sel:DWORD
	v_and_or_b32 v0, v12, s15, v11
	v_cmp_ne_u32_e64 s[0:1], 0, v0
	v_cndmask_b32_e64 v0, 0, 1, s[0:1]
	v_lshrrev_b32_e32 v7, 8, v12
	v_bfe_u32 v8, v12, 20, 11
	v_and_or_b32 v0, v7, s10, v0
	v_sub_u32_e32 v9, 0x3f1, v8
	v_or_b32_e32 v7, 0x1000, v0
	v_med3_i32 v9, v9, 0, 13
	v_lshrrev_b32_e32 v11, v9, v7
	v_lshlrev_b32_e32 v9, v9, v11
	v_cmp_ne_u32_e64 s[0:1], v9, v7
	v_fma_f16 v10, v86, v15, -v10
	v_cndmask_b32_e64 v7, 0, 1, s[0:1]
	v_add_u32_e32 v9, 0xfffffc10, v8
	v_cvt_f32_f16_e32 v10, v10
	v_or_b32_e32 v7, v11, v7
	v_lshl_or_b32 v8, v9, 12, v0
	v_cmp_gt_i32_e64 s[0:1], 1, v9
	v_cndmask_b32_e64 v7, v8, v7, s[0:1]
	v_and_b32_e32 v8, 7, v7
	v_cmp_lt_i32_e64 s[0:1], 5, v8
	v_cmp_eq_u32_e64 s[2:3], 3, v8
	v_lshrrev_b32_e32 v11, 2, v7
	v_cvt_f64_f32_e32 v[7:8], v10
	s_or_b64 s[0:1], s[2:3], s[0:1]
	v_addc_co_u32_e64 v10, s[0:1], 0, v11, s[0:1]
	v_mul_f64 v[7:8], v[7:8], s[12:13]
	v_cmp_gt_i32_e64 s[0:1], 31, v9
	v_cndmask_b32_e64 v10, v2, v10, s[0:1]
	v_cmp_ne_u32_e64 s[0:1], 0, v0
	v_cndmask_b32_e64 v0, 0, 1, s[0:1]
	v_lshl_or_b32 v0, v0, 9, v2
	v_cmp_eq_u32_e64 s[0:1], s11, v9
	v_cndmask_b32_e64 v0, v10, v0, s[0:1]
	v_and_or_b32 v7, v8, s15, v7
	v_lshrrev_b32_e32 v9, 16, v12
	v_cmp_ne_u32_e64 s[0:1], 0, v7
	v_and_or_b32 v0, v9, s14, v0
	v_cndmask_b32_e64 v7, 0, 1, s[0:1]
	v_lshrrev_b32_e32 v9, 8, v8
	v_bfe_u32 v10, v8, 20, 11
	v_and_or_b32 v7, v9, s10, v7
	v_sub_u32_e32 v11, 0x3f1, v10
	v_or_b32_e32 v9, 0x1000, v7
	v_med3_i32 v11, v11, 0, 13
	v_lshrrev_b32_e32 v12, v11, v9
	v_lshlrev_b32_e32 v11, v11, v12
	v_cmp_ne_u32_e64 s[0:1], v11, v9
	v_cndmask_b32_e64 v9, 0, 1, s[0:1]
	v_add_u32_e32 v11, 0xfffffc10, v10
	v_or_b32_e32 v9, v12, v9
	v_lshl_or_b32 v10, v11, 12, v7
	v_cmp_gt_i32_e64 s[0:1], 1, v11
	v_cndmask_b32_e64 v9, v10, v9, s[0:1]
	v_and_b32_e32 v10, 7, v9
	v_cmp_lt_i32_e64 s[0:1], 5, v10
	v_cmp_eq_u32_e64 s[2:3], 3, v10
	v_lshrrev_b32_e32 v9, 2, v9
	s_or_b64 s[0:1], s[2:3], s[0:1]
	v_addc_co_u32_e64 v9, s[0:1], 0, v9, s[0:1]
	v_cmp_gt_i32_e64 s[0:1], 31, v11
	v_cndmask_b32_e64 v12, v2, v9, s[0:1]
	ds_read2_b32 v[9:10], v70 offset0:144 offset1:168
	v_cmp_ne_u32_e64 s[0:1], 0, v7
	v_cndmask_b32_e64 v7, 0, 1, s[0:1]
	v_lshl_or_b32 v7, v7, 9, v2
	v_cmp_eq_u32_e64 s[0:1], s11, v11
	s_waitcnt lgkmcnt(0)
	v_lshrrev_b32_e32 v11, 16, v9
	v_cndmask_b32_e64 v7, v12, v7, s[0:1]
	v_mul_f16_sdwa v12, v84, v11 dst_sel:DWORD dst_unused:UNUSED_PAD src0_sel:WORD_1 src1_sel:DWORD
	v_fma_f16 v12, v84, v9, v12
	v_cvt_f32_f16_e32 v12, v12
	v_lshrrev_b32_e32 v8, 16, v8
	v_and_or_b32 v7, v8, s14, v7
	v_and_b32_e32 v0, 0xffff, v0
	v_lshl_or_b32 v0, v7, 16, v0
	v_cvt_f64_f32_e32 v[7:8], v12
	s_mul_i32 s0, s9, 0xc0
	s_mul_hi_u32 s4, s8, 0xc0
	s_add_i32 s4, s4, s0
	v_mul_f64 v[7:8], v[7:8], s[12:13]
	s_mul_i32 s5, s8, 0xc0
	v_mov_b32_e32 v12, s4
	v_add_co_u32_e64 v5, s[0:1], s5, v5
	v_addc_co_u32_e64 v6, s[0:1], v6, v12, s[0:1]
	global_store_dword v[5:6], v0, off
	v_and_or_b32 v0, v8, s15, v7
	v_cmp_ne_u32_e64 s[0:1], 0, v0
	v_cndmask_b32_e64 v0, 0, 1, s[0:1]
	v_lshrrev_b32_e32 v7, 8, v8
	v_bfe_u32 v12, v8, 20, 11
	v_and_or_b32 v0, v7, s10, v0
	v_sub_u32_e32 v13, 0x3f1, v12
	v_or_b32_e32 v7, 0x1000, v0
	v_med3_i32 v13, v13, 0, 13
	v_lshrrev_b32_e32 v14, v13, v7
	v_lshlrev_b32_e32 v13, v13, v14
	v_mul_f16_sdwa v9, v84, v9 dst_sel:DWORD dst_unused:UNUSED_PAD src0_sel:WORD_1 src1_sel:DWORD
	v_cmp_ne_u32_e64 s[0:1], v13, v7
	v_fma_f16 v9, v84, v11, -v9
	v_cndmask_b32_e64 v7, 0, 1, s[0:1]
	v_add_u32_e32 v13, 0xfffffc10, v12
	v_cvt_f32_f16_e32 v9, v9
	v_or_b32_e32 v7, v14, v7
	v_lshl_or_b32 v12, v13, 12, v0
	v_cmp_gt_i32_e64 s[0:1], 1, v13
	v_cndmask_b32_e64 v7, v12, v7, s[0:1]
	v_and_b32_e32 v12, 7, v7
	v_cmp_lt_i32_e64 s[0:1], 5, v12
	v_cmp_eq_u32_e64 s[2:3], 3, v12
	v_cvt_f64_f32_e32 v[11:12], v9
	v_lshrrev_b32_e32 v7, 2, v7
	s_or_b64 s[0:1], s[2:3], s[0:1]
	v_addc_co_u32_e64 v7, s[0:1], 0, v7, s[0:1]
	v_mul_f64 v[11:12], v[11:12], s[12:13]
	v_cmp_gt_i32_e64 s[0:1], 31, v13
	v_cndmask_b32_e64 v7, v2, v7, s[0:1]
	v_cmp_ne_u32_e64 s[0:1], 0, v0
	v_cndmask_b32_e64 v0, 0, 1, s[0:1]
	v_lshl_or_b32 v0, v0, 9, v2
	v_cmp_eq_u32_e64 s[0:1], s11, v13
	v_cndmask_b32_e64 v0, v7, v0, s[0:1]
	v_lshrrev_b32_e32 v7, 16, v8
	v_and_or_b32 v0, v7, s14, v0
	v_and_or_b32 v7, v12, s15, v11
	v_cmp_ne_u32_e64 s[0:1], 0, v7
	v_cndmask_b32_e64 v7, 0, 1, s[0:1]
	v_lshrrev_b32_e32 v8, 8, v12
	v_bfe_u32 v9, v12, 20, 11
	v_and_or_b32 v7, v8, s10, v7
	v_sub_u32_e32 v11, 0x3f1, v9
	v_or_b32_e32 v8, 0x1000, v7
	v_med3_i32 v11, v11, 0, 13
	v_lshrrev_b32_e32 v13, v11, v8
	v_lshlrev_b32_e32 v11, v11, v13
	v_cmp_ne_u32_e64 s[0:1], v11, v8
	v_cndmask_b32_e64 v8, 0, 1, s[0:1]
	v_add_u32_e32 v9, 0xfffffc10, v9
	v_or_b32_e32 v8, v13, v8
	v_lshl_or_b32 v11, v9, 12, v7
	v_cmp_gt_i32_e64 s[0:1], 1, v9
	v_cndmask_b32_e64 v8, v11, v8, s[0:1]
	v_and_b32_e32 v11, 7, v8
	v_cmp_lt_i32_e64 s[0:1], 5, v11
	v_cmp_eq_u32_e64 s[2:3], 3, v11
	v_lshrrev_b32_e32 v8, 2, v8
	s_or_b64 s[0:1], s[2:3], s[0:1]
	v_addc_co_u32_e64 v8, s[0:1], 0, v8, s[0:1]
	v_cmp_gt_i32_e64 s[0:1], 31, v9
	v_lshrrev_b32_e32 v13, 16, v10
	v_cndmask_b32_e64 v11, v2, v8, s[0:1]
	v_mul_f16_sdwa v8, v83, v13 dst_sel:DWORD dst_unused:UNUSED_PAD src0_sel:WORD_1 src1_sel:DWORD
	v_fma_f16 v8, v83, v10, v8
	v_cvt_f32_f16_e32 v8, v8
	v_cmp_ne_u32_e64 s[0:1], 0, v7
	v_cndmask_b32_e64 v7, 0, 1, s[0:1]
	v_lshl_or_b32 v14, v7, 9, v2
	v_cvt_f64_f32_e32 v[7:8], v8
	v_cmp_eq_u32_e64 s[0:1], s11, v9
	v_cndmask_b32_e64 v9, v11, v14, s[0:1]
	v_lshrrev_b32_e32 v11, 16, v12
	v_mul_f64 v[7:8], v[7:8], s[12:13]
	v_and_or_b32 v9, v11, s14, v9
	v_and_b32_e32 v0, 0xffff, v0
	v_add_co_u32_e64 v5, s[0:1], s6, v5
	v_lshl_or_b32 v0, v9, 16, v0
	v_addc_co_u32_e64 v6, s[0:1], v6, v1, s[0:1]
	global_store_dword v[5:6], v0, off
	v_and_or_b32 v0, v8, s15, v7
	v_cmp_ne_u32_e64 s[0:1], 0, v0
	v_cndmask_b32_e64 v0, 0, 1, s[0:1]
	v_lshrrev_b32_e32 v7, 8, v8
	v_bfe_u32 v9, v8, 20, 11
	v_and_or_b32 v0, v7, s10, v0
	v_sub_u32_e32 v11, 0x3f1, v9
	v_or_b32_e32 v7, 0x1000, v0
	v_med3_i32 v11, v11, 0, 13
	v_lshrrev_b32_e32 v12, v11, v7
	v_lshlrev_b32_e32 v11, v11, v12
	v_mul_f16_sdwa v10, v83, v10 dst_sel:DWORD dst_unused:UNUSED_PAD src0_sel:WORD_1 src1_sel:DWORD
	v_cmp_ne_u32_e64 s[0:1], v11, v7
	v_fma_f16 v10, v83, v13, -v10
	v_cndmask_b32_e64 v7, 0, 1, s[0:1]
	v_add_u32_e32 v11, 0xfffffc10, v9
	v_cvt_f32_f16_e32 v10, v10
	v_or_b32_e32 v7, v12, v7
	v_lshl_or_b32 v9, v11, 12, v0
	v_cmp_gt_i32_e64 s[0:1], 1, v11
	v_cndmask_b32_e64 v7, v9, v7, s[0:1]
	v_and_b32_e32 v9, 7, v7
	v_cmp_lt_i32_e64 s[0:1], 5, v9
	v_cmp_eq_u32_e64 s[2:3], 3, v9
	v_cvt_f64_f32_e32 v[9:10], v10
	v_lshrrev_b32_e32 v7, 2, v7
	s_or_b64 s[0:1], s[2:3], s[0:1]
	v_addc_co_u32_e64 v7, s[0:1], 0, v7, s[0:1]
	v_mul_f64 v[9:10], v[9:10], s[12:13]
	v_cmp_gt_i32_e64 s[0:1], 31, v11
	v_cndmask_b32_e64 v7, v2, v7, s[0:1]
	v_cmp_ne_u32_e64 s[0:1], 0, v0
	v_cndmask_b32_e64 v0, 0, 1, s[0:1]
	v_lshl_or_b32 v0, v0, 9, v2
	v_cmp_eq_u32_e64 s[0:1], s11, v11
	v_cndmask_b32_e64 v0, v7, v0, s[0:1]
	v_lshrrev_b32_e32 v7, 16, v8
	buffer_load_dword v16, off, s[40:43], 0 offset:8 ; 4-byte Folded Reload
	v_and_or_b32 v0, v7, s14, v0
	v_and_or_b32 v7, v10, s15, v9
	v_cmp_ne_u32_e64 s[0:1], 0, v7
	v_cndmask_b32_e64 v7, 0, 1, s[0:1]
	v_lshrrev_b32_e32 v8, 8, v10
	v_and_or_b32 v9, v8, s10, v7
	v_bfe_u32 v8, v10, 20, 11
	v_sub_u32_e32 v11, 0x3f1, v8
	v_or_b32_e32 v7, 0x1000, v9
	v_med3_i32 v11, v11, 0, 13
	v_lshrrev_b32_e32 v12, v11, v7
	v_lshlrev_b32_e32 v11, v11, v12
	v_cmp_ne_u32_e64 s[0:1], v11, v7
	v_cndmask_b32_e64 v7, 0, 1, s[0:1]
	v_add_u32_e32 v13, 0xfffffc10, v8
	v_or_b32_e32 v7, v12, v7
	v_lshl_or_b32 v8, v13, 12, v9
	v_cmp_gt_i32_e64 s[0:1], 1, v13
	v_cndmask_b32_e64 v7, v8, v7, s[0:1]
	v_and_b32_e32 v8, 7, v7
	v_cmp_lt_i32_e64 s[0:1], 5, v8
	v_cmp_eq_u32_e64 s[2:3], 3, v8
	v_lshrrev_b32_e32 v11, 2, v7
	ds_read2_b32 v[7:8], v70 offset0:192 offset1:216
	s_or_b64 s[0:1], s[2:3], s[0:1]
	v_addc_co_u32_e64 v11, s[0:1], 0, v11, s[0:1]
	v_cmp_gt_i32_e64 s[0:1], 31, v13
	s_waitcnt lgkmcnt(0)
	v_lshrrev_b32_e32 v15, 16, v7
	v_cndmask_b32_e64 v14, v2, v11, s[0:1]
	v_mul_f16_sdwa v11, v82, v15 dst_sel:DWORD dst_unused:UNUSED_PAD src0_sel:WORD_1 src1_sel:DWORD
	v_fma_f16 v11, v82, v7, v11
	v_cvt_f32_f16_e32 v11, v11
	v_cmp_ne_u32_e64 s[0:1], 0, v9
	v_cndmask_b32_e64 v9, 0, 1, s[0:1]
	v_lshl_or_b32 v9, v9, 9, v2
	v_cvt_f64_f32_e32 v[11:12], v11
	v_cmp_eq_u32_e64 s[0:1], s11, v13
	v_cndmask_b32_e64 v9, v14, v9, s[0:1]
	v_lshrrev_b32_e32 v10, 16, v10
	v_and_or_b32 v13, v10, s14, v9
	v_mul_f64 v[9:10], v[11:12], s[12:13]
	v_and_b32_e32 v0, 0xffff, v0
	v_add_co_u32_e64 v5, s[0:1], s6, v5
	v_lshl_or_b32 v0, v13, 16, v0
	v_addc_co_u32_e64 v6, s[0:1], v6, v1, s[0:1]
	global_store_dword v[5:6], v0, off
	v_and_or_b32 v0, v10, s15, v9
	v_cmp_ne_u32_e64 s[0:1], 0, v0
	v_cndmask_b32_e64 v0, 0, 1, s[0:1]
	v_lshrrev_b32_e32 v9, 8, v10
	v_bfe_u32 v11, v10, 20, 11
	v_and_or_b32 v0, v9, s10, v0
	v_sub_u32_e32 v12, 0x3f1, v11
	v_or_b32_e32 v9, 0x1000, v0
	v_med3_i32 v12, v12, 0, 13
	v_lshrrev_b32_e32 v13, v12, v9
	v_lshlrev_b32_e32 v12, v12, v13
	v_cmp_ne_u32_e64 s[0:1], v12, v9
	v_mul_f16_sdwa v7, v82, v7 dst_sel:DWORD dst_unused:UNUSED_PAD src0_sel:WORD_1 src1_sel:DWORD
	v_cndmask_b32_e64 v9, 0, 1, s[0:1]
	v_fma_f16 v7, v82, v15, -v7
	v_or_b32_e32 v9, v13, v9
	v_add_u32_e32 v13, 0xfffffc10, v11
	v_cvt_f32_f16_e32 v7, v7
	v_lshl_or_b32 v11, v13, 12, v0
	v_cmp_gt_i32_e64 s[0:1], 1, v13
	v_cndmask_b32_e64 v9, v11, v9, s[0:1]
	v_and_b32_e32 v11, 7, v9
	v_cmp_lt_i32_e64 s[0:1], 5, v11
	v_cmp_eq_u32_e64 s[2:3], 3, v11
	v_cvt_f64_f32_e32 v[11:12], v7
	v_lshrrev_b32_e32 v9, 2, v9
	s_or_b64 s[0:1], s[2:3], s[0:1]
	v_addc_co_u32_e64 v7, s[0:1], 0, v9, s[0:1]
	v_mul_f64 v[11:12], v[11:12], s[12:13]
	v_cmp_gt_i32_e64 s[0:1], 31, v13
	v_cndmask_b32_e64 v7, v2, v7, s[0:1]
	v_cmp_ne_u32_e64 s[0:1], 0, v0
	v_cndmask_b32_e64 v0, 0, 1, s[0:1]
	v_lshl_or_b32 v0, v0, 9, v2
	v_cmp_eq_u32_e64 s[0:1], s11, v13
	v_cndmask_b32_e64 v0, v7, v0, s[0:1]
	v_lshrrev_b32_e32 v7, 16, v10
	v_and_or_b32 v7, v7, s14, v0
	v_and_or_b32 v0, v12, s15, v11
	v_cmp_ne_u32_e64 s[0:1], 0, v0
	v_cndmask_b32_e64 v0, 0, 1, s[0:1]
	v_lshrrev_b32_e32 v9, 8, v12
	v_bfe_u32 v10, v12, 20, 11
	v_and_or_b32 v0, v9, s10, v0
	v_sub_u32_e32 v11, 0x3f1, v10
	v_or_b32_e32 v9, 0x1000, v0
	v_med3_i32 v11, v11, 0, 13
	v_lshrrev_b32_e32 v13, v11, v9
	v_lshlrev_b32_e32 v11, v11, v13
	v_cmp_ne_u32_e64 s[0:1], v11, v9
	v_cndmask_b32_e64 v9, 0, 1, s[0:1]
	v_add_u32_e32 v11, 0xfffffc10, v10
	v_or_b32_e32 v9, v13, v9
	v_lshl_or_b32 v10, v11, 12, v0
	v_cmp_gt_i32_e64 s[0:1], 1, v11
	v_cndmask_b32_e64 v9, v10, v9, s[0:1]
	v_and_b32_e32 v10, 7, v9
	v_cmp_lt_i32_e64 s[0:1], 5, v10
	v_cmp_eq_u32_e64 s[2:3], 3, v10
	v_lshrrev_b32_e32 v9, 2, v9
	s_or_b64 s[0:1], s[2:3], s[0:1]
	v_addc_co_u32_e64 v9, s[0:1], 0, v9, s[0:1]
	v_cmp_gt_i32_e64 s[0:1], 31, v11
	v_cndmask_b32_e64 v13, v2, v9, s[0:1]
	v_cmp_ne_u32_e64 s[0:1], 0, v0
	v_cndmask_b32_e64 v0, 0, 1, s[0:1]
	s_waitcnt vmcnt(1)
	v_mad_u64_u32 v[9:10], s[0:1], s8, v16, 0
	v_lshl_or_b32 v0, v0, 9, v2
	v_cmp_eq_u32_e64 s[0:1], s11, v11
	v_lshrrev_b32_e32 v14, 16, v8
	v_cndmask_b32_e64 v13, v13, v0, s[0:1]
	v_mov_b32_e32 v0, v10
	v_mul_f16_sdwa v10, v80, v14 dst_sel:DWORD dst_unused:UNUSED_PAD src0_sel:WORD_1 src1_sel:DWORD
	v_fma_f16 v10, v80, v8, v10
	v_cvt_f32_f16_e32 v15, v10
	v_mad_u64_u32 v[10:11], s[0:1], s9, v16, v[0:1]
	v_lshrrev_b32_e32 v0, 16, v12
	v_cvt_f64_f32_e32 v[11:12], v15
	v_lshlrev_b64 v[9:10], 2, v[9:10]
	v_and_or_b32 v0, v0, s14, v13
	v_and_b32_e32 v7, 0xffff, v7
	v_mul_f64 v[11:12], v[11:12], s[12:13]
	v_add_co_u32_e64 v9, s[0:1], v3, v9
	v_lshl_or_b32 v0, v0, 16, v7
	v_addc_co_u32_e64 v10, s[0:1], v4, v10, s[0:1]
	global_store_dword v[9:10], v0, off
	v_mul_f16_sdwa v8, v80, v8 dst_sel:DWORD dst_unused:UNUSED_PAD src0_sel:WORD_1 src1_sel:DWORD
	v_and_or_b32 v0, v12, s15, v11
	v_cmp_ne_u32_e64 s[0:1], 0, v0
	v_cndmask_b32_e64 v0, 0, 1, s[0:1]
	v_lshrrev_b32_e32 v7, 8, v12
	v_bfe_u32 v9, v12, 20, 11
	v_and_or_b32 v0, v7, s10, v0
	v_sub_u32_e32 v10, 0x3f1, v9
	v_or_b32_e32 v7, 0x1000, v0
	v_med3_i32 v10, v10, 0, 13
	v_lshrrev_b32_e32 v11, v10, v7
	v_lshlrev_b32_e32 v10, v10, v11
	v_cmp_ne_u32_e64 s[0:1], v10, v7
	v_fma_f16 v8, v80, v14, -v8
	v_cndmask_b32_e64 v7, 0, 1, s[0:1]
	v_add_u32_e32 v9, 0xfffffc10, v9
	v_cvt_f32_f16_e32 v8, v8
	v_or_b32_e32 v7, v11, v7
	v_lshl_or_b32 v10, v9, 12, v0
	v_cmp_gt_i32_e64 s[0:1], 1, v9
	v_cndmask_b32_e64 v7, v10, v7, s[0:1]
	v_and_b32_e32 v10, 7, v7
	v_cmp_lt_i32_e64 s[0:1], 5, v10
	v_cmp_eq_u32_e64 s[2:3], 3, v10
	v_lshrrev_b32_e32 v10, 2, v7
	v_cvt_f64_f32_e32 v[7:8], v8
	s_or_b64 s[0:1], s[2:3], s[0:1]
	v_addc_co_u32_e64 v10, s[0:1], 0, v10, s[0:1]
	v_mul_f64 v[7:8], v[7:8], s[12:13]
	v_cmp_gt_i32_e64 s[0:1], 31, v9
	v_cndmask_b32_e64 v10, v2, v10, s[0:1]
	v_cmp_ne_u32_e64 s[0:1], 0, v0
	v_cndmask_b32_e64 v0, 0, 1, s[0:1]
	v_lshl_or_b32 v0, v0, 9, v2
	v_cmp_eq_u32_e64 s[0:1], s11, v9
	v_cndmask_b32_e64 v0, v10, v0, s[0:1]
	v_and_or_b32 v7, v8, s15, v7
	v_lshrrev_b32_e32 v9, 16, v12
	v_cmp_ne_u32_e64 s[0:1], 0, v7
	v_and_or_b32 v0, v9, s14, v0
	v_cndmask_b32_e64 v7, 0, 1, s[0:1]
	v_lshrrev_b32_e32 v9, 8, v8
	v_bfe_u32 v10, v8, 20, 11
	v_and_or_b32 v7, v9, s10, v7
	v_sub_u32_e32 v11, 0x3f1, v10
	v_or_b32_e32 v9, 0x1000, v7
	v_med3_i32 v11, v11, 0, 13
	v_lshrrev_b32_e32 v12, v11, v9
	v_lshlrev_b32_e32 v11, v11, v12
	v_cmp_ne_u32_e64 s[0:1], v11, v9
	v_cndmask_b32_e64 v9, 0, 1, s[0:1]
	v_add_u32_e32 v11, 0xfffffc10, v10
	v_or_b32_e32 v9, v12, v9
	v_lshl_or_b32 v10, v11, 12, v7
	v_cmp_gt_i32_e64 s[0:1], 1, v11
	v_cndmask_b32_e64 v9, v10, v9, s[0:1]
	v_and_b32_e32 v10, 7, v9
	v_cmp_lt_i32_e64 s[0:1], 5, v10
	v_cmp_eq_u32_e64 s[2:3], 3, v10
	v_lshrrev_b32_e32 v9, 2, v9
	s_or_b64 s[0:1], s[2:3], s[0:1]
	v_addc_co_u32_e64 v12, s[0:1], 0, v9, s[0:1]
	v_add_u32_e32 v9, 0x200, v70
	ds_read2_b32 v[9:10], v9 offset0:112 offset1:136
	v_cmp_gt_i32_e64 s[0:1], 31, v11
	v_cndmask_b32_e64 v12, v2, v12, s[0:1]
	v_cmp_ne_u32_e64 s[0:1], 0, v7
	v_cndmask_b32_e64 v7, 0, 1, s[0:1]
	s_waitcnt lgkmcnt(0)
	v_lshrrev_b32_e32 v13, 16, v9
	v_mul_f16_sdwa v14, v79, v13 dst_sel:DWORD dst_unused:UNUSED_PAD src0_sel:WORD_1 src1_sel:DWORD
	v_fma_f16 v14, v79, v9, v14
	v_cvt_f32_f16_e32 v14, v14
	v_lshl_or_b32 v7, v7, 9, v2
	v_cmp_eq_u32_e64 s[0:1], s11, v11
	v_cndmask_b32_e64 v7, v12, v7, s[0:1]
	v_cvt_f64_f32_e32 v[11:12], v14
	v_lshrrev_b32_e32 v8, 16, v8
	v_and_or_b32 v14, v8, s14, v7
	v_and_b32_e32 v0, 0xffff, v0
	v_mul_f64 v[7:8], v[11:12], s[12:13]
	v_mov_b32_e32 v11, s4
	v_add_co_u32_e64 v5, s[0:1], s5, v5
	v_lshl_or_b32 v0, v14, 16, v0
	v_addc_co_u32_e64 v6, s[0:1], v6, v11, s[0:1]
	global_store_dword v[5:6], v0, off
	v_and_or_b32 v0, v8, s15, v7
	v_cmp_ne_u32_e64 s[0:1], 0, v0
	v_cndmask_b32_e64 v0, 0, 1, s[0:1]
	v_lshrrev_b32_e32 v7, 8, v8
	v_bfe_u32 v11, v8, 20, 11
	v_and_or_b32 v0, v7, s10, v0
	v_sub_u32_e32 v12, 0x3f1, v11
	v_or_b32_e32 v7, 0x1000, v0
	v_med3_i32 v12, v12, 0, 13
	v_lshrrev_b32_e32 v14, v12, v7
	v_lshlrev_b32_e32 v12, v12, v14
	v_cmp_ne_u32_e64 s[0:1], v12, v7
	v_mul_f16_sdwa v9, v79, v9 dst_sel:DWORD dst_unused:UNUSED_PAD src0_sel:WORD_1 src1_sel:DWORD
	v_cndmask_b32_e64 v7, 0, 1, s[0:1]
	v_fma_f16 v9, v79, v13, -v9
	v_or_b32_e32 v7, v14, v7
	v_add_u32_e32 v14, 0xfffffc10, v11
	v_cvt_f32_f16_e32 v9, v9
	v_lshl_or_b32 v11, v14, 12, v0
	v_cmp_gt_i32_e64 s[0:1], 1, v14
	v_cndmask_b32_e64 v7, v11, v7, s[0:1]
	v_and_b32_e32 v11, 7, v7
	v_cmp_lt_i32_e64 s[0:1], 5, v11
	v_cmp_eq_u32_e64 s[2:3], 3, v11
	v_cvt_f64_f32_e32 v[11:12], v9
	v_lshrrev_b32_e32 v7, 2, v7
	s_or_b64 s[0:1], s[2:3], s[0:1]
	v_addc_co_u32_e64 v7, s[0:1], 0, v7, s[0:1]
	v_mul_f64 v[11:12], v[11:12], s[12:13]
	v_cmp_gt_i32_e64 s[0:1], 31, v14
	v_cndmask_b32_e64 v7, v2, v7, s[0:1]
	v_cmp_ne_u32_e64 s[0:1], 0, v0
	v_cndmask_b32_e64 v0, 0, 1, s[0:1]
	v_lshl_or_b32 v0, v0, 9, v2
	v_cmp_eq_u32_e64 s[0:1], s11, v14
	v_cndmask_b32_e64 v0, v7, v0, s[0:1]
	v_lshrrev_b32_e32 v7, 16, v8
	v_and_or_b32 v0, v7, s14, v0
	v_and_or_b32 v7, v12, s15, v11
	v_cmp_ne_u32_e64 s[0:1], 0, v7
	v_cndmask_b32_e64 v7, 0, 1, s[0:1]
	v_lshrrev_b32_e32 v8, 8, v12
	v_bfe_u32 v9, v12, 20, 11
	v_and_or_b32 v7, v8, s10, v7
	v_sub_u32_e32 v11, 0x3f1, v9
	v_or_b32_e32 v8, 0x1000, v7
	v_med3_i32 v11, v11, 0, 13
	v_lshrrev_b32_e32 v13, v11, v8
	v_lshlrev_b32_e32 v11, v11, v13
	v_cmp_ne_u32_e64 s[0:1], v11, v8
	v_cndmask_b32_e64 v8, 0, 1, s[0:1]
	v_add_u32_e32 v9, 0xfffffc10, v9
	v_or_b32_e32 v8, v13, v8
	v_lshl_or_b32 v11, v9, 12, v7
	v_cmp_gt_i32_e64 s[0:1], 1, v9
	v_cndmask_b32_e64 v8, v11, v8, s[0:1]
	v_and_b32_e32 v11, 7, v8
	v_cmp_lt_i32_e64 s[0:1], 5, v11
	v_cmp_eq_u32_e64 s[2:3], 3, v11
	v_lshrrev_b32_e32 v8, 2, v8
	s_or_b64 s[0:1], s[2:3], s[0:1]
	v_addc_co_u32_e64 v8, s[0:1], 0, v8, s[0:1]
	v_cmp_gt_i32_e64 s[0:1], 31, v9
	v_lshrrev_b32_e32 v13, 16, v10
	v_cndmask_b32_e64 v11, v2, v8, s[0:1]
	v_mul_f16_sdwa v8, v78, v13 dst_sel:DWORD dst_unused:UNUSED_PAD src0_sel:WORD_1 src1_sel:DWORD
	v_fma_f16 v8, v78, v10, v8
	v_cvt_f32_f16_e32 v8, v8
	v_cmp_ne_u32_e64 s[0:1], 0, v7
	v_cndmask_b32_e64 v7, 0, 1, s[0:1]
	v_lshl_or_b32 v14, v7, 9, v2
	v_cvt_f64_f32_e32 v[7:8], v8
	v_cmp_eq_u32_e64 s[0:1], s11, v9
	v_cndmask_b32_e64 v9, v11, v14, s[0:1]
	v_lshrrev_b32_e32 v11, 16, v12
	v_mul_f64 v[7:8], v[7:8], s[12:13]
	v_and_or_b32 v9, v11, s14, v9
	v_and_b32_e32 v0, 0xffff, v0
	v_add_co_u32_e64 v5, s[0:1], s6, v5
	v_lshl_or_b32 v0, v9, 16, v0
	v_addc_co_u32_e64 v6, s[0:1], v6, v1, s[0:1]
	global_store_dword v[5:6], v0, off
	v_and_or_b32 v0, v8, s15, v7
	v_cmp_ne_u32_e64 s[0:1], 0, v0
	v_cndmask_b32_e64 v0, 0, 1, s[0:1]
	v_lshrrev_b32_e32 v7, 8, v8
	v_bfe_u32 v9, v8, 20, 11
	v_and_or_b32 v0, v7, s10, v0
	v_sub_u32_e32 v11, 0x3f1, v9
	v_or_b32_e32 v7, 0x1000, v0
	v_med3_i32 v11, v11, 0, 13
	v_lshrrev_b32_e32 v12, v11, v7
	v_lshlrev_b32_e32 v11, v11, v12
	v_mul_f16_sdwa v10, v78, v10 dst_sel:DWORD dst_unused:UNUSED_PAD src0_sel:WORD_1 src1_sel:DWORD
	v_cmp_ne_u32_e64 s[0:1], v11, v7
	v_fma_f16 v10, v78, v13, -v10
	v_cndmask_b32_e64 v7, 0, 1, s[0:1]
	v_add_u32_e32 v11, 0xfffffc10, v9
	v_cvt_f32_f16_e32 v10, v10
	v_or_b32_e32 v7, v12, v7
	v_lshl_or_b32 v9, v11, 12, v0
	v_cmp_gt_i32_e64 s[0:1], 1, v11
	v_cndmask_b32_e64 v7, v9, v7, s[0:1]
	v_and_b32_e32 v9, 7, v7
	v_cmp_lt_i32_e64 s[0:1], 5, v9
	v_cmp_eq_u32_e64 s[2:3], 3, v9
	v_cvt_f64_f32_e32 v[9:10], v10
	v_lshrrev_b32_e32 v7, 2, v7
	s_or_b64 s[0:1], s[2:3], s[0:1]
	v_addc_co_u32_e64 v7, s[0:1], 0, v7, s[0:1]
	v_mul_f64 v[9:10], v[9:10], s[12:13]
	v_cmp_gt_i32_e64 s[0:1], 31, v11
	v_cndmask_b32_e64 v7, v2, v7, s[0:1]
	v_cmp_ne_u32_e64 s[0:1], 0, v0
	v_cndmask_b32_e64 v0, 0, 1, s[0:1]
	v_lshl_or_b32 v0, v0, 9, v2
	v_cmp_eq_u32_e64 s[0:1], s11, v11
	v_cndmask_b32_e64 v0, v7, v0, s[0:1]
	v_lshrrev_b32_e32 v7, 16, v8
	buffer_load_dword v16, off, s[40:43], 0 offset:4 ; 4-byte Folded Reload
	v_and_or_b32 v0, v7, s14, v0
	v_and_or_b32 v7, v10, s15, v9
	v_cmp_ne_u32_e64 s[0:1], 0, v7
	v_cndmask_b32_e64 v7, 0, 1, s[0:1]
	v_lshrrev_b32_e32 v8, 8, v10
	v_and_or_b32 v9, v8, s10, v7
	v_bfe_u32 v8, v10, 20, 11
	v_sub_u32_e32 v11, 0x3f1, v8
	v_or_b32_e32 v7, 0x1000, v9
	v_med3_i32 v11, v11, 0, 13
	v_lshrrev_b32_e32 v12, v11, v7
	v_lshlrev_b32_e32 v11, v11, v12
	v_cmp_ne_u32_e64 s[0:1], v11, v7
	v_cndmask_b32_e64 v7, 0, 1, s[0:1]
	v_add_u32_e32 v13, 0xfffffc10, v8
	v_or_b32_e32 v7, v12, v7
	v_lshl_or_b32 v8, v13, 12, v9
	v_cmp_gt_i32_e64 s[0:1], 1, v13
	v_cndmask_b32_e64 v7, v8, v7, s[0:1]
	v_and_b32_e32 v8, 7, v7
	v_cmp_lt_i32_e64 s[0:1], 5, v8
	v_cmp_eq_u32_e64 s[2:3], 3, v8
	v_lshrrev_b32_e32 v11, 2, v7
	ds_read2_b32 v[7:8], v24 offset0:32 offset1:56
	s_or_b64 s[0:1], s[2:3], s[0:1]
	v_addc_co_u32_e64 v11, s[0:1], 0, v11, s[0:1]
	v_cmp_gt_i32_e64 s[0:1], 31, v13
	s_waitcnt lgkmcnt(0)
	v_lshrrev_b32_e32 v15, 16, v7
	v_cndmask_b32_e64 v14, v2, v11, s[0:1]
	v_mul_f16_sdwa v11, v77, v15 dst_sel:DWORD dst_unused:UNUSED_PAD src0_sel:WORD_1 src1_sel:DWORD
	v_fma_f16 v11, v77, v7, v11
	v_cvt_f32_f16_e32 v11, v11
	v_cmp_ne_u32_e64 s[0:1], 0, v9
	v_cndmask_b32_e64 v9, 0, 1, s[0:1]
	v_lshl_or_b32 v9, v9, 9, v2
	v_cvt_f64_f32_e32 v[11:12], v11
	v_cmp_eq_u32_e64 s[0:1], s11, v13
	v_cndmask_b32_e64 v9, v14, v9, s[0:1]
	v_lshrrev_b32_e32 v10, 16, v10
	v_and_or_b32 v13, v10, s14, v9
	v_mul_f64 v[9:10], v[11:12], s[12:13]
	v_and_b32_e32 v0, 0xffff, v0
	v_add_co_u32_e64 v5, s[0:1], s6, v5
	v_lshl_or_b32 v0, v13, 16, v0
	v_addc_co_u32_e64 v6, s[0:1], v6, v1, s[0:1]
	global_store_dword v[5:6], v0, off
	v_and_or_b32 v0, v10, s15, v9
	v_cmp_ne_u32_e64 s[0:1], 0, v0
	v_cndmask_b32_e64 v0, 0, 1, s[0:1]
	v_lshrrev_b32_e32 v9, 8, v10
	v_bfe_u32 v11, v10, 20, 11
	v_and_or_b32 v0, v9, s10, v0
	v_sub_u32_e32 v12, 0x3f1, v11
	v_or_b32_e32 v9, 0x1000, v0
	v_med3_i32 v12, v12, 0, 13
	v_lshrrev_b32_e32 v13, v12, v9
	v_lshlrev_b32_e32 v12, v12, v13
	v_cmp_ne_u32_e64 s[0:1], v12, v9
	v_mul_f16_sdwa v7, v77, v7 dst_sel:DWORD dst_unused:UNUSED_PAD src0_sel:WORD_1 src1_sel:DWORD
	v_cndmask_b32_e64 v9, 0, 1, s[0:1]
	v_fma_f16 v7, v77, v15, -v7
	v_or_b32_e32 v9, v13, v9
	v_add_u32_e32 v13, 0xfffffc10, v11
	v_cvt_f32_f16_e32 v7, v7
	v_lshl_or_b32 v11, v13, 12, v0
	v_cmp_gt_i32_e64 s[0:1], 1, v13
	v_cndmask_b32_e64 v9, v11, v9, s[0:1]
	v_and_b32_e32 v11, 7, v9
	v_cmp_lt_i32_e64 s[0:1], 5, v11
	v_cmp_eq_u32_e64 s[2:3], 3, v11
	v_cvt_f64_f32_e32 v[11:12], v7
	v_lshrrev_b32_e32 v9, 2, v9
	s_or_b64 s[0:1], s[2:3], s[0:1]
	v_addc_co_u32_e64 v7, s[0:1], 0, v9, s[0:1]
	v_mul_f64 v[11:12], v[11:12], s[12:13]
	v_cmp_gt_i32_e64 s[0:1], 31, v13
	v_cndmask_b32_e64 v7, v2, v7, s[0:1]
	v_cmp_ne_u32_e64 s[0:1], 0, v0
	v_cndmask_b32_e64 v0, 0, 1, s[0:1]
	v_lshl_or_b32 v0, v0, 9, v2
	v_cmp_eq_u32_e64 s[0:1], s11, v13
	v_cndmask_b32_e64 v0, v7, v0, s[0:1]
	v_lshrrev_b32_e32 v7, 16, v10
	v_and_or_b32 v7, v7, s14, v0
	v_and_or_b32 v0, v12, s15, v11
	v_cmp_ne_u32_e64 s[0:1], 0, v0
	v_cndmask_b32_e64 v0, 0, 1, s[0:1]
	v_lshrrev_b32_e32 v9, 8, v12
	v_bfe_u32 v10, v12, 20, 11
	v_and_or_b32 v0, v9, s10, v0
	v_sub_u32_e32 v11, 0x3f1, v10
	v_or_b32_e32 v9, 0x1000, v0
	v_med3_i32 v11, v11, 0, 13
	v_lshrrev_b32_e32 v13, v11, v9
	v_lshlrev_b32_e32 v11, v11, v13
	v_cmp_ne_u32_e64 s[0:1], v11, v9
	v_cndmask_b32_e64 v9, 0, 1, s[0:1]
	v_add_u32_e32 v11, 0xfffffc10, v10
	v_or_b32_e32 v9, v13, v9
	v_lshl_or_b32 v10, v11, 12, v0
	v_cmp_gt_i32_e64 s[0:1], 1, v11
	v_cndmask_b32_e64 v9, v10, v9, s[0:1]
	v_and_b32_e32 v10, 7, v9
	v_cmp_lt_i32_e64 s[0:1], 5, v10
	v_cmp_eq_u32_e64 s[2:3], 3, v10
	v_lshrrev_b32_e32 v9, 2, v9
	s_or_b64 s[0:1], s[2:3], s[0:1]
	v_addc_co_u32_e64 v9, s[0:1], 0, v9, s[0:1]
	v_cmp_gt_i32_e64 s[0:1], 31, v11
	v_cndmask_b32_e64 v13, v2, v9, s[0:1]
	v_cmp_ne_u32_e64 s[0:1], 0, v0
	v_cndmask_b32_e64 v0, 0, 1, s[0:1]
	s_waitcnt vmcnt(1)
	v_mad_u64_u32 v[9:10], s[0:1], s8, v16, 0
	v_lshl_or_b32 v0, v0, 9, v2
	v_cmp_eq_u32_e64 s[0:1], s11, v11
	v_lshrrev_b32_e32 v14, 16, v8
	v_cndmask_b32_e64 v13, v13, v0, s[0:1]
	v_mov_b32_e32 v0, v10
	v_mul_f16_sdwa v10, v75, v14 dst_sel:DWORD dst_unused:UNUSED_PAD src0_sel:WORD_1 src1_sel:DWORD
	v_fma_f16 v10, v75, v8, v10
	v_cvt_f32_f16_e32 v15, v10
	v_mad_u64_u32 v[10:11], s[0:1], s9, v16, v[0:1]
	v_lshrrev_b32_e32 v0, 16, v12
	v_cvt_f64_f32_e32 v[11:12], v15
	v_lshlrev_b64 v[9:10], 2, v[9:10]
	v_and_or_b32 v0, v0, s14, v13
	v_and_b32_e32 v7, 0xffff, v7
	v_mul_f64 v[11:12], v[11:12], s[12:13]
	v_add_co_u32_e64 v9, s[0:1], v3, v9
	v_lshl_or_b32 v0, v0, 16, v7
	v_addc_co_u32_e64 v10, s[0:1], v4, v10, s[0:1]
	global_store_dword v[9:10], v0, off
	v_mul_f16_sdwa v8, v75, v8 dst_sel:DWORD dst_unused:UNUSED_PAD src0_sel:WORD_1 src1_sel:DWORD
	v_and_or_b32 v0, v12, s15, v11
	v_cmp_ne_u32_e64 s[0:1], 0, v0
	v_cndmask_b32_e64 v0, 0, 1, s[0:1]
	v_lshrrev_b32_e32 v7, 8, v12
	v_bfe_u32 v9, v12, 20, 11
	v_and_or_b32 v0, v7, s10, v0
	v_sub_u32_e32 v10, 0x3f1, v9
	v_or_b32_e32 v7, 0x1000, v0
	v_med3_i32 v10, v10, 0, 13
	v_lshrrev_b32_e32 v11, v10, v7
	v_lshlrev_b32_e32 v10, v10, v11
	v_cmp_ne_u32_e64 s[0:1], v10, v7
	v_fma_f16 v8, v75, v14, -v8
	v_cndmask_b32_e64 v7, 0, 1, s[0:1]
	v_add_u32_e32 v9, 0xfffffc10, v9
	v_cvt_f32_f16_e32 v8, v8
	v_or_b32_e32 v7, v11, v7
	v_lshl_or_b32 v10, v9, 12, v0
	v_cmp_gt_i32_e64 s[0:1], 1, v9
	v_cndmask_b32_e64 v7, v10, v7, s[0:1]
	v_and_b32_e32 v10, 7, v7
	v_cmp_lt_i32_e64 s[0:1], 5, v10
	v_cmp_eq_u32_e64 s[2:3], 3, v10
	v_lshrrev_b32_e32 v10, 2, v7
	v_cvt_f64_f32_e32 v[7:8], v8
	s_or_b64 s[0:1], s[2:3], s[0:1]
	v_addc_co_u32_e64 v10, s[0:1], 0, v10, s[0:1]
	v_mul_f64 v[7:8], v[7:8], s[12:13]
	v_cmp_gt_i32_e64 s[0:1], 31, v9
	v_cndmask_b32_e64 v10, v2, v10, s[0:1]
	v_cmp_ne_u32_e64 s[0:1], 0, v0
	v_cndmask_b32_e64 v0, 0, 1, s[0:1]
	v_lshl_or_b32 v0, v0, 9, v2
	v_cmp_eq_u32_e64 s[0:1], s11, v9
	v_cndmask_b32_e64 v0, v10, v0, s[0:1]
	v_and_or_b32 v7, v8, s15, v7
	v_lshrrev_b32_e32 v9, 16, v12
	v_cmp_ne_u32_e64 s[0:1], 0, v7
	v_and_or_b32 v0, v9, s14, v0
	v_cndmask_b32_e64 v7, 0, 1, s[0:1]
	v_lshrrev_b32_e32 v9, 8, v8
	v_bfe_u32 v10, v8, 20, 11
	v_and_or_b32 v7, v9, s10, v7
	v_sub_u32_e32 v11, 0x3f1, v10
	v_or_b32_e32 v9, 0x1000, v7
	v_med3_i32 v11, v11, 0, 13
	v_lshrrev_b32_e32 v12, v11, v9
	v_lshlrev_b32_e32 v11, v11, v12
	v_cmp_ne_u32_e64 s[0:1], v11, v9
	v_cndmask_b32_e64 v9, 0, 1, s[0:1]
	v_add_u32_e32 v11, 0xfffffc10, v10
	v_or_b32_e32 v9, v12, v9
	v_lshl_or_b32 v10, v11, 12, v7
	v_cmp_gt_i32_e64 s[0:1], 1, v11
	v_cndmask_b32_e64 v9, v10, v9, s[0:1]
	v_and_b32_e32 v10, 7, v9
	v_cmp_lt_i32_e64 s[0:1], 5, v10
	v_cmp_eq_u32_e64 s[2:3], 3, v10
	v_lshrrev_b32_e32 v9, 2, v9
	s_or_b64 s[0:1], s[2:3], s[0:1]
	v_addc_co_u32_e64 v12, s[0:1], 0, v9, s[0:1]
	ds_read2_b32 v[9:10], v24 offset0:80 offset1:104
	v_cmp_gt_i32_e64 s[0:1], 31, v11
	v_cndmask_b32_e64 v12, v2, v12, s[0:1]
	v_cmp_ne_u32_e64 s[0:1], 0, v7
	v_cndmask_b32_e64 v7, 0, 1, s[0:1]
	s_waitcnt lgkmcnt(0)
	v_lshrrev_b32_e32 v13, 16, v9
	v_mul_f16_sdwa v14, v74, v13 dst_sel:DWORD dst_unused:UNUSED_PAD src0_sel:WORD_1 src1_sel:DWORD
	v_fma_f16 v14, v74, v9, v14
	v_cvt_f32_f16_e32 v14, v14
	v_lshl_or_b32 v7, v7, 9, v2
	v_cmp_eq_u32_e64 s[0:1], s11, v11
	v_cndmask_b32_e64 v7, v12, v7, s[0:1]
	v_cvt_f64_f32_e32 v[11:12], v14
	v_lshrrev_b32_e32 v8, 16, v8
	v_and_or_b32 v14, v8, s14, v7
	v_and_b32_e32 v0, 0xffff, v0
	v_mul_f64 v[7:8], v[11:12], s[12:13]
	v_mov_b32_e32 v11, s4
	v_add_co_u32_e64 v5, s[0:1], s5, v5
	v_lshl_or_b32 v0, v14, 16, v0
	v_addc_co_u32_e64 v6, s[0:1], v6, v11, s[0:1]
	global_store_dword v[5:6], v0, off
	v_and_or_b32 v0, v8, s15, v7
	v_cmp_ne_u32_e64 s[0:1], 0, v0
	v_cndmask_b32_e64 v0, 0, 1, s[0:1]
	v_lshrrev_b32_e32 v7, 8, v8
	v_bfe_u32 v11, v8, 20, 11
	v_and_or_b32 v0, v7, s10, v0
	v_sub_u32_e32 v12, 0x3f1, v11
	v_or_b32_e32 v7, 0x1000, v0
	v_med3_i32 v12, v12, 0, 13
	v_lshrrev_b32_e32 v14, v12, v7
	v_lshlrev_b32_e32 v12, v12, v14
	v_cmp_ne_u32_e64 s[0:1], v12, v7
	v_mul_f16_sdwa v9, v74, v9 dst_sel:DWORD dst_unused:UNUSED_PAD src0_sel:WORD_1 src1_sel:DWORD
	v_cndmask_b32_e64 v7, 0, 1, s[0:1]
	v_fma_f16 v9, v74, v13, -v9
	v_or_b32_e32 v7, v14, v7
	v_add_u32_e32 v14, 0xfffffc10, v11
	v_cvt_f32_f16_e32 v9, v9
	v_lshl_or_b32 v11, v14, 12, v0
	v_cmp_gt_i32_e64 s[0:1], 1, v14
	v_cndmask_b32_e64 v7, v11, v7, s[0:1]
	v_and_b32_e32 v11, 7, v7
	v_cmp_lt_i32_e64 s[0:1], 5, v11
	v_cmp_eq_u32_e64 s[2:3], 3, v11
	v_cvt_f64_f32_e32 v[11:12], v9
	v_lshrrev_b32_e32 v7, 2, v7
	s_or_b64 s[0:1], s[2:3], s[0:1]
	v_addc_co_u32_e64 v7, s[0:1], 0, v7, s[0:1]
	v_mul_f64 v[11:12], v[11:12], s[12:13]
	v_cmp_gt_i32_e64 s[0:1], 31, v14
	v_cndmask_b32_e64 v7, v2, v7, s[0:1]
	v_cmp_ne_u32_e64 s[0:1], 0, v0
	v_cndmask_b32_e64 v0, 0, 1, s[0:1]
	v_lshl_or_b32 v0, v0, 9, v2
	v_cmp_eq_u32_e64 s[0:1], s11, v14
	v_cndmask_b32_e64 v0, v7, v0, s[0:1]
	v_lshrrev_b32_e32 v7, 16, v8
	v_and_or_b32 v0, v7, s14, v0
	v_and_or_b32 v7, v12, s15, v11
	v_cmp_ne_u32_e64 s[0:1], 0, v7
	v_cndmask_b32_e64 v7, 0, 1, s[0:1]
	v_lshrrev_b32_e32 v8, 8, v12
	v_bfe_u32 v9, v12, 20, 11
	v_and_or_b32 v7, v8, s10, v7
	v_sub_u32_e32 v11, 0x3f1, v9
	v_or_b32_e32 v8, 0x1000, v7
	v_med3_i32 v11, v11, 0, 13
	v_lshrrev_b32_e32 v13, v11, v8
	v_lshlrev_b32_e32 v11, v11, v13
	v_cmp_ne_u32_e64 s[0:1], v11, v8
	v_cndmask_b32_e64 v8, 0, 1, s[0:1]
	v_add_u32_e32 v9, 0xfffffc10, v9
	v_or_b32_e32 v8, v13, v8
	v_lshl_or_b32 v11, v9, 12, v7
	v_cmp_gt_i32_e64 s[0:1], 1, v9
	v_cndmask_b32_e64 v8, v11, v8, s[0:1]
	v_and_b32_e32 v11, 7, v8
	v_cmp_lt_i32_e64 s[0:1], 5, v11
	v_cmp_eq_u32_e64 s[2:3], 3, v11
	v_lshrrev_b32_e32 v8, 2, v8
	s_or_b64 s[0:1], s[2:3], s[0:1]
	v_addc_co_u32_e64 v8, s[0:1], 0, v8, s[0:1]
	v_cmp_gt_i32_e64 s[0:1], 31, v9
	v_lshrrev_b32_e32 v13, 16, v10
	v_cndmask_b32_e64 v11, v2, v8, s[0:1]
	v_mul_f16_sdwa v8, v73, v13 dst_sel:DWORD dst_unused:UNUSED_PAD src0_sel:WORD_1 src1_sel:DWORD
	v_fma_f16 v8, v73, v10, v8
	v_cvt_f32_f16_e32 v8, v8
	v_cmp_ne_u32_e64 s[0:1], 0, v7
	v_cndmask_b32_e64 v7, 0, 1, s[0:1]
	v_lshl_or_b32 v14, v7, 9, v2
	v_cvt_f64_f32_e32 v[7:8], v8
	v_cmp_eq_u32_e64 s[0:1], s11, v9
	v_cndmask_b32_e64 v9, v11, v14, s[0:1]
	v_lshrrev_b32_e32 v11, 16, v12
	v_mul_f64 v[7:8], v[7:8], s[12:13]
	v_and_or_b32 v9, v11, s14, v9
	v_and_b32_e32 v0, 0xffff, v0
	v_add_co_u32_e64 v5, s[0:1], s6, v5
	v_lshl_or_b32 v0, v9, 16, v0
	v_addc_co_u32_e64 v6, s[0:1], v6, v1, s[0:1]
	global_store_dword v[5:6], v0, off
	v_and_or_b32 v0, v8, s15, v7
	v_cmp_ne_u32_e64 s[0:1], 0, v0
	v_cndmask_b32_e64 v0, 0, 1, s[0:1]
	v_lshrrev_b32_e32 v7, 8, v8
	v_bfe_u32 v9, v8, 20, 11
	v_and_or_b32 v0, v7, s10, v0
	v_sub_u32_e32 v11, 0x3f1, v9
	v_or_b32_e32 v7, 0x1000, v0
	v_med3_i32 v11, v11, 0, 13
	v_lshrrev_b32_e32 v12, v11, v7
	v_lshlrev_b32_e32 v11, v11, v12
	v_mul_f16_sdwa v10, v73, v10 dst_sel:DWORD dst_unused:UNUSED_PAD src0_sel:WORD_1 src1_sel:DWORD
	v_cmp_ne_u32_e64 s[0:1], v11, v7
	v_fma_f16 v10, v73, v13, -v10
	v_cndmask_b32_e64 v7, 0, 1, s[0:1]
	v_add_u32_e32 v11, 0xfffffc10, v9
	v_cvt_f32_f16_e32 v10, v10
	v_or_b32_e32 v7, v12, v7
	v_lshl_or_b32 v9, v11, 12, v0
	v_cmp_gt_i32_e64 s[0:1], 1, v11
	v_cndmask_b32_e64 v7, v9, v7, s[0:1]
	v_and_b32_e32 v9, 7, v7
	v_cmp_lt_i32_e64 s[0:1], 5, v9
	v_cmp_eq_u32_e64 s[2:3], 3, v9
	v_cvt_f64_f32_e32 v[9:10], v10
	v_lshrrev_b32_e32 v7, 2, v7
	s_or_b64 s[0:1], s[2:3], s[0:1]
	v_addc_co_u32_e64 v7, s[0:1], 0, v7, s[0:1]
	v_mul_f64 v[9:10], v[9:10], s[12:13]
	v_cmp_gt_i32_e64 s[0:1], 31, v11
	v_cndmask_b32_e64 v7, v2, v7, s[0:1]
	v_cmp_ne_u32_e64 s[0:1], 0, v0
	v_cndmask_b32_e64 v0, 0, 1, s[0:1]
	v_lshl_or_b32 v0, v0, 9, v2
	v_cmp_eq_u32_e64 s[0:1], s11, v11
	v_cndmask_b32_e64 v0, v7, v0, s[0:1]
	v_lshrrev_b32_e32 v7, 16, v8
	v_and_or_b32 v0, v7, s14, v0
	v_and_or_b32 v7, v10, s15, v9
	v_cmp_ne_u32_e64 s[0:1], 0, v7
	v_cndmask_b32_e64 v7, 0, 1, s[0:1]
	v_lshrrev_b32_e32 v8, 8, v10
	v_bfe_u32 v9, v10, 20, 11
	v_and_or_b32 v7, v8, s10, v7
	v_sub_u32_e32 v11, 0x3f1, v9
	v_or_b32_e32 v8, 0x1000, v7
	v_med3_i32 v11, v11, 0, 13
	v_lshrrev_b32_e32 v12, v11, v8
	v_lshlrev_b32_e32 v11, v11, v12
	v_cmp_ne_u32_e64 s[0:1], v11, v8
	v_cndmask_b32_e64 v8, 0, 1, s[0:1]
	v_add_u32_e32 v9, 0xfffffc10, v9
	v_or_b32_e32 v8, v12, v8
	v_lshl_or_b32 v11, v9, 12, v7
	v_cmp_gt_i32_e64 s[0:1], 1, v9
	v_cndmask_b32_e64 v8, v11, v8, s[0:1]
	v_and_b32_e32 v11, 7, v8
	v_cmp_lt_i32_e64 s[0:1], 5, v11
	v_cmp_eq_u32_e64 s[2:3], 3, v11
	ds_read_b32 v11, v70 offset:1536
	v_lshrrev_b32_e32 v8, 2, v8
	s_or_b64 s[0:1], s[2:3], s[0:1]
	v_addc_co_u32_e64 v8, s[0:1], 0, v8, s[0:1]
	v_cmp_gt_i32_e64 s[0:1], 31, v9
	s_waitcnt lgkmcnt(0)
	v_lshrrev_b32_e32 v13, 16, v11
	v_cndmask_b32_e64 v12, v2, v8, s[0:1]
	v_mul_f16_sdwa v8, v72, v13 dst_sel:DWORD dst_unused:UNUSED_PAD src0_sel:WORD_1 src1_sel:DWORD
	v_fma_f16 v8, v72, v11, v8
	v_cvt_f32_f16_e32 v8, v8
	v_cmp_ne_u32_e64 s[0:1], 0, v7
	v_cndmask_b32_e64 v7, 0, 1, s[0:1]
	v_lshl_or_b32 v14, v7, 9, v2
	v_cvt_f64_f32_e32 v[7:8], v8
	v_cmp_eq_u32_e64 s[0:1], s11, v9
	v_cndmask_b32_e64 v9, v12, v14, s[0:1]
	v_lshrrev_b32_e32 v10, 16, v10
	v_mul_f64 v[7:8], v[7:8], s[12:13]
	v_and_or_b32 v9, v10, s14, v9
	v_and_b32_e32 v0, 0xffff, v0
	v_lshl_or_b32 v9, v9, 16, v0
	v_add_co_u32_e64 v0, s[0:1], s6, v5
	v_addc_co_u32_e64 v1, s[0:1], v6, v1, s[0:1]
	v_and_or_b32 v5, v8, s15, v7
	v_cmp_ne_u32_e64 s[0:1], 0, v5
	v_cndmask_b32_e64 v5, 0, 1, s[0:1]
	v_lshrrev_b32_e32 v6, 8, v8
	v_and_or_b32 v7, v6, s10, v5
	v_bfe_u32 v6, v8, 20, 11
	global_store_dword v[0:1], v9, off
	v_sub_u32_e32 v9, 0x3f1, v6
	v_or_b32_e32 v5, 0x1000, v7
	v_med3_i32 v9, v9, 0, 13
	v_lshrrev_b32_e32 v10, v9, v5
	v_lshlrev_b32_e32 v9, v9, v10
	v_cmp_ne_u32_e64 s[0:1], v9, v5
	v_cndmask_b32_e64 v5, 0, 1, s[0:1]
	v_or_b32_e32 v5, v10, v5
	v_mul_f16_sdwa v10, v72, v11 dst_sel:DWORD dst_unused:UNUSED_PAD src0_sel:WORD_1 src1_sel:DWORD
	v_fma_f16 v10, v72, v13, -v10
	v_add_u32_e32 v9, 0xfffffc10, v6
	v_cvt_f32_f16_e32 v10, v10
	v_lshl_or_b32 v6, v9, 12, v7
	v_cmp_gt_i32_e64 s[0:1], 1, v9
	v_cndmask_b32_e64 v5, v6, v5, s[0:1]
	v_and_b32_e32 v6, 7, v5
	v_cmp_lt_i32_e64 s[0:1], 5, v6
	v_cmp_eq_u32_e64 s[2:3], 3, v6
	v_lshrrev_b32_e32 v11, 2, v5
	v_cvt_f64_f32_e32 v[5:6], v10
	s_or_b64 s[0:1], s[2:3], s[0:1]
	v_addc_co_u32_e64 v10, s[0:1], 0, v11, s[0:1]
	v_mul_f64 v[5:6], v[5:6], s[12:13]
	v_cmp_gt_i32_e64 s[0:1], 31, v9
	v_cndmask_b32_e64 v10, v2, v10, s[0:1]
	v_cmp_ne_u32_e64 s[0:1], 0, v7
	v_cndmask_b32_e64 v7, 0, 1, s[0:1]
	v_lshl_or_b32 v7, v7, 9, v2
	v_cmp_eq_u32_e64 s[0:1], s11, v9
	v_cndmask_b32_e64 v7, v10, v7, s[0:1]
	v_and_or_b32 v5, v6, s15, v5
	v_lshrrev_b32_e32 v8, 16, v8
	v_cmp_ne_u32_e64 s[0:1], 0, v5
	v_and_or_b32 v10, v8, s14, v7
	v_cndmask_b32_e64 v5, 0, 1, s[0:1]
	v_lshrrev_b32_e32 v7, 8, v6
	v_bfe_u32 v8, v6, 20, 11
	v_and_or_b32 v5, v7, s10, v5
	v_sub_u32_e32 v9, 0x3f1, v8
	v_or_b32_e32 v7, 0x1000, v5
	v_med3_i32 v9, v9, 0, 13
	v_lshrrev_b32_e32 v11, v9, v7
	v_lshlrev_b32_e32 v9, v9, v11
	v_cmp_ne_u32_e64 s[0:1], v9, v7
	buffer_load_dword v9, off, s[40:43], 0  ; 4-byte Folded Reload
	v_cndmask_b32_e64 v7, 0, 1, s[0:1]
	v_or_b32_e32 v7, v11, v7
	v_add_u32_e32 v11, 0xfffffc10, v8
	v_lshl_or_b32 v8, v11, 12, v5
	v_cmp_gt_i32_e64 s[0:1], 1, v11
	v_cndmask_b32_e64 v7, v8, v7, s[0:1]
	v_and_b32_e32 v8, 7, v7
	v_cmp_lt_i32_e64 s[0:1], 5, v8
	v_cmp_eq_u32_e64 s[2:3], 3, v8
	v_lshrrev_b32_e32 v7, 2, v7
	s_or_b64 s[0:1], s[2:3], s[0:1]
	v_addc_co_u32_e64 v7, s[0:1], 0, v7, s[0:1]
	v_cmp_gt_i32_e64 s[0:1], 31, v11
	v_cndmask_b32_e64 v12, v2, v7, s[0:1]
	s_waitcnt vmcnt(0)
	v_mad_u64_u32 v[7:8], s[0:1], s8, v9, 0
	v_cmp_ne_u32_e64 s[0:1], 0, v5
	v_cndmask_b32_e64 v5, 0, 1, s[0:1]
	v_lshl_or_b32 v13, v5, 9, v2
	v_mov_b32_e32 v5, v8
	v_mad_u64_u32 v[8:9], s[0:1], s9, v9, v[5:6]
	v_cmp_eq_u32_e64 s[0:1], s11, v11
	v_cndmask_b32_e64 v5, v12, v13, s[0:1]
	v_lshrrev_b32_e32 v6, 16, v6
	v_and_or_b32 v5, v6, s14, v5
	v_and_b32_e32 v6, 0xffff, v10
	v_lshl_or_b32 v9, v5, 16, v6
	v_lshlrev_b64 v[5:6], 2, v[7:8]
	v_add_co_u32_e64 v3, s[0:1], v3, v5
	v_addc_co_u32_e64 v4, s[0:1], v4, v6, s[0:1]
	global_store_dword v[3:4], v9, off
	s_and_b64 exec, exec, vcc
	s_cbranch_execz .LBB0_15
; %bb.14:
	global_load_dword v5, v[21:22], off offset:68
	ds_read2_b32 v[3:4], v70 offset0:17 offset1:41
	s_waitcnt lgkmcnt(0)
	v_lshrrev_b32_e32 v6, 16, v3
	s_waitcnt vmcnt(0)
	v_mul_f16_sdwa v7, v6, v5 dst_sel:DWORD dst_unused:UNUSED_PAD src0_sel:DWORD src1_sel:WORD_1
	v_fma_f16 v7, v3, v5, v7
	v_mul_f16_sdwa v3, v3, v5 dst_sel:DWORD dst_unused:UNUSED_PAD src0_sel:DWORD src1_sel:WORD_1
	v_cvt_f32_f16_e32 v7, v7
	v_fma_f16 v3, v5, v6, -v3
	v_cvt_f32_f16_e32 v3, v3
	v_cvt_f64_f32_e32 v[5:6], v7
	v_cvt_f64_f32_e32 v[7:8], v3
	v_mov_b32_e32 v3, 0xfffffaa4
	v_mul_f64 v[5:6], v[5:6], s[12:13]
	v_mad_u64_u32 v[9:10], s[0:1], s8, v3, v[0:1]
	v_mul_f64 v[0:1], v[7:8], s[12:13]
	s_mul_i32 s0, s9, 0xfffffaa4
	s_sub_i32 s0, s0, s8
	v_add_u32_e32 v10, s0, v10
	v_and_or_b32 v3, v6, s15, v5
	v_cmp_ne_u32_e32 vcc, 0, v3
	v_lshrrev_b32_e32 v5, 8, v6
	v_and_or_b32 v0, v1, s15, v0
	v_bfe_u32 v7, v6, 20, 11
	v_cndmask_b32_e64 v3, 0, 1, vcc
	v_cmp_ne_u32_e32 vcc, 0, v0
	v_lshrrev_b32_e32 v8, 8, v1
	v_bfe_u32 v11, v1, 20, 11
	v_sub_u32_e32 v12, 0x3f1, v7
	v_cndmask_b32_e64 v0, 0, 1, vcc
	v_and_or_b32 v3, v5, s10, v3
	v_sub_u32_e32 v13, 0x3f1, v11
	v_med3_i32 v5, v12, 0, 13
	v_and_or_b32 v0, v8, s10, v0
	v_or_b32_e32 v12, 0x1000, v3
	v_add_u32_e32 v7, 0xfffffc10, v7
	v_med3_i32 v8, v13, 0, 13
	v_cmp_ne_u32_e32 vcc, 0, v3
	v_or_b32_e32 v14, 0x1000, v0
	v_lshrrev_b32_e32 v16, v5, v12
	v_add_u32_e32 v11, 0xfffffc10, v11
	v_lshl_or_b32 v13, v7, 12, v3
	v_cndmask_b32_e64 v3, 0, 1, vcc
	v_cmp_ne_u32_e32 vcc, 0, v0
	v_lshrrev_b32_e32 v17, v8, v14
	v_lshlrev_b32_e32 v5, v5, v16
	v_lshl_or_b32 v15, v11, 12, v0
	v_cndmask_b32_e64 v0, 0, 1, vcc
	v_lshlrev_b32_e32 v8, v8, v17
	v_cmp_ne_u32_e32 vcc, v5, v12
	v_cndmask_b32_e64 v5, 0, 1, vcc
	v_cmp_ne_u32_e32 vcc, v8, v14
	v_cndmask_b32_e64 v8, 0, 1, vcc
	v_or_b32_e32 v5, v16, v5
	v_cmp_gt_i32_e32 vcc, 1, v7
	v_cndmask_b32_e32 v5, v13, v5, vcc
	v_or_b32_e32 v8, v17, v8
	v_cmp_gt_i32_e32 vcc, 1, v11
	v_and_b32_e32 v12, 7, v5
	v_cndmask_b32_e32 v8, v15, v8, vcc
	v_cmp_lt_i32_e32 vcc, 5, v12
	v_cmp_eq_u32_e64 s[0:1], 3, v12
	v_lshrrev_b32_e32 v5, 2, v5
	v_and_b32_e32 v13, 7, v8
	s_or_b64 vcc, s[0:1], vcc
	v_cmp_lt_i32_e64 s[2:3], 5, v13
	v_cmp_eq_u32_e64 s[4:5], 3, v13
	v_addc_co_u32_e32 v5, vcc, 0, v5, vcc
	v_lshrrev_b32_e32 v8, 2, v8
	s_or_b64 vcc, s[4:5], s[2:3]
	v_addc_co_u32_e32 v8, vcc, 0, v8, vcc
	v_cmp_gt_i32_e32 vcc, 31, v7
	v_cndmask_b32_e32 v5, v2, v5, vcc
	v_cmp_gt_i32_e32 vcc, 31, v11
	v_lshl_or_b32 v3, v3, 9, v2
	v_cndmask_b32_e32 v8, v2, v8, vcc
	v_cmp_eq_u32_e32 vcc, s11, v7
	v_lshrrev_b32_e32 v6, 16, v6
	v_lshl_or_b32 v0, v0, 9, v2
	v_cndmask_b32_e32 v3, v5, v3, vcc
	v_cmp_eq_u32_e32 vcc, s11, v11
	v_lshrrev_b32_e32 v1, 16, v1
	v_cndmask_b32_e32 v0, v8, v0, vcc
	v_and_or_b32 v3, v6, s14, v3
	v_and_or_b32 v0, v1, s14, v0
	v_and_b32_e32 v1, 0xffff, v3
	v_lshl_or_b32 v0, v0, 16, v1
	global_store_dword v[9:10], v0, off
	global_load_dword v0, v[21:22], off offset:164
	v_lshrrev_b32_e32 v1, 16, v4
	v_add_co_u32_e32 v7, vcc, s6, v9
	s_waitcnt vmcnt(0)
	v_mul_f16_sdwa v3, v1, v0 dst_sel:DWORD dst_unused:UNUSED_PAD src0_sel:DWORD src1_sel:WORD_1
	v_fma_f16 v3, v4, v0, v3
	v_mul_f16_sdwa v4, v4, v0 dst_sel:DWORD dst_unused:UNUSED_PAD src0_sel:DWORD src1_sel:WORD_1
	v_cvt_f32_f16_e32 v3, v3
	v_fma_f16 v0, v0, v1, -v4
	v_cvt_f32_f16_e32 v4, v0
	v_cvt_f64_f32_e32 v[0:1], v3
	v_cvt_f64_f32_e32 v[3:4], v4
	v_mul_f64 v[5:6], v[0:1], s[12:13]
	v_mov_b32_e32 v0, s7
	v_mul_f64 v[3:4], v[3:4], s[12:13]
	v_addc_co_u32_e32 v8, vcc, v10, v0, vcc
	v_and_or_b32 v1, v6, s15, v5
	v_cmp_ne_u32_e32 vcc, 0, v1
	v_and_or_b32 v3, v4, s15, v3
	v_lshrrev_b32_e32 v5, 8, v6
	v_bfe_u32 v9, v6, 20, 11
	v_cndmask_b32_e64 v1, 0, 1, vcc
	v_cmp_ne_u32_e32 vcc, 0, v3
	v_lshrrev_b32_e32 v10, 8, v4
	v_bfe_u32 v11, v4, 20, 11
	v_sub_u32_e32 v12, 0x3f1, v9
	v_cndmask_b32_e64 v3, 0, 1, vcc
	v_and_or_b32 v1, v5, s10, v1
	v_sub_u32_e32 v13, 0x3f1, v11
	v_med3_i32 v5, v12, 0, 13
	v_and_or_b32 v3, v10, s10, v3
	v_or_b32_e32 v12, 0x1000, v1
	v_add_u32_e32 v9, 0xfffffc10, v9
	v_med3_i32 v10, v13, 0, 13
	v_cmp_ne_u32_e32 vcc, 0, v1
	v_or_b32_e32 v14, 0x1000, v3
	v_lshrrev_b32_e32 v16, v5, v12
	v_add_u32_e32 v11, 0xfffffc10, v11
	v_lshl_or_b32 v13, v9, 12, v1
	v_cndmask_b32_e64 v1, 0, 1, vcc
	v_cmp_ne_u32_e32 vcc, 0, v3
	v_lshrrev_b32_e32 v17, v10, v14
	v_lshlrev_b32_e32 v5, v5, v16
	v_lshl_or_b32 v15, v11, 12, v3
	v_cndmask_b32_e64 v3, 0, 1, vcc
	v_lshlrev_b32_e32 v10, v10, v17
	v_cmp_ne_u32_e32 vcc, v5, v12
	v_cndmask_b32_e64 v5, 0, 1, vcc
	v_cmp_ne_u32_e32 vcc, v10, v14
	v_cndmask_b32_e64 v10, 0, 1, vcc
	v_or_b32_e32 v5, v16, v5
	v_cmp_gt_i32_e32 vcc, 1, v9
	v_cndmask_b32_e32 v5, v13, v5, vcc
	v_or_b32_e32 v10, v17, v10
	v_cmp_gt_i32_e32 vcc, 1, v11
	v_and_b32_e32 v12, 7, v5
	v_cndmask_b32_e32 v10, v15, v10, vcc
	v_cmp_lt_i32_e32 vcc, 5, v12
	v_cmp_eq_u32_e64 s[0:1], 3, v12
	v_lshrrev_b32_e32 v5, 2, v5
	v_and_b32_e32 v13, 7, v10
	s_or_b64 vcc, s[0:1], vcc
	v_cmp_lt_i32_e64 s[2:3], 5, v13
	v_cmp_eq_u32_e64 s[4:5], 3, v13
	v_addc_co_u32_e32 v5, vcc, 0, v5, vcc
	v_lshrrev_b32_e32 v10, 2, v10
	s_or_b64 vcc, s[4:5], s[2:3]
	v_addc_co_u32_e32 v10, vcc, 0, v10, vcc
	v_cmp_gt_i32_e32 vcc, 31, v9
	v_cndmask_b32_e32 v5, v2, v5, vcc
	v_cmp_gt_i32_e32 vcc, 31, v11
	v_lshl_or_b32 v1, v1, 9, v2
	v_cndmask_b32_e32 v10, v2, v10, vcc
	v_cmp_eq_u32_e32 vcc, s11, v9
	v_lshrrev_b32_e32 v6, 16, v6
	v_lshl_or_b32 v3, v3, 9, v2
	v_cndmask_b32_e32 v1, v5, v1, vcc
	v_cmp_eq_u32_e32 vcc, s11, v11
	v_lshrrev_b32_e32 v4, 16, v4
	v_cndmask_b32_e32 v3, v10, v3, vcc
	v_and_or_b32 v1, v6, s14, v1
	v_and_or_b32 v3, v4, s14, v3
	v_and_b32_e32 v1, 0xffff, v1
	v_lshl_or_b32 v1, v3, 16, v1
	global_store_dword v[7:8], v1, off
	global_load_dword v1, v[21:22], off offset:260
	ds_read2_b32 v[3:4], v70 offset0:65 offset1:89
	v_add_co_u32_e32 v7, vcc, s6, v7
	v_addc_co_u32_e32 v8, vcc, v8, v0, vcc
	s_waitcnt lgkmcnt(0)
	v_lshrrev_b32_e32 v5, 16, v3
	s_waitcnt vmcnt(0)
	v_mul_f16_sdwa v6, v5, v1 dst_sel:DWORD dst_unused:UNUSED_PAD src0_sel:DWORD src1_sel:WORD_1
	v_fma_f16 v6, v3, v1, v6
	v_mul_f16_sdwa v3, v3, v1 dst_sel:DWORD dst_unused:UNUSED_PAD src0_sel:DWORD src1_sel:WORD_1
	v_cvt_f32_f16_e32 v6, v6
	v_fma_f16 v1, v1, v5, -v3
	v_cvt_f32_f16_e32 v1, v1
	v_cvt_f64_f32_e32 v[5:6], v6
	v_cvt_f64_f32_e32 v[9:10], v1
	v_mul_f64 v[5:6], v[5:6], s[12:13]
	v_mul_f64 v[9:10], v[9:10], s[12:13]
	v_and_or_b32 v1, v6, s15, v5
	v_cmp_ne_u32_e32 vcc, 0, v1
	v_and_or_b32 v9, v10, s15, v9
	v_lshrrev_b32_e32 v3, 8, v6
	v_bfe_u32 v5, v6, 20, 11
	v_cndmask_b32_e64 v1, 0, 1, vcc
	v_cmp_ne_u32_e32 vcc, 0, v9
	v_lshrrev_b32_e32 v11, 8, v10
	v_bfe_u32 v12, v10, 20, 11
	v_sub_u32_e32 v13, 0x3f1, v5
	v_cndmask_b32_e64 v9, 0, 1, vcc
	v_and_or_b32 v1, v3, s10, v1
	v_sub_u32_e32 v14, 0x3f1, v12
	v_med3_i32 v3, v13, 0, 13
	v_and_or_b32 v9, v11, s10, v9
	v_or_b32_e32 v13, 0x1000, v1
	v_add_u32_e32 v5, 0xfffffc10, v5
	v_med3_i32 v11, v14, 0, 13
	v_cmp_ne_u32_e32 vcc, 0, v1
	v_or_b32_e32 v15, 0x1000, v9
	v_lshrrev_b32_e32 v17, v3, v13
	v_add_u32_e32 v12, 0xfffffc10, v12
	v_lshl_or_b32 v14, v5, 12, v1
	v_cndmask_b32_e64 v1, 0, 1, vcc
	v_cmp_ne_u32_e32 vcc, 0, v9
	v_lshrrev_b32_e32 v18, v11, v15
	v_lshlrev_b32_e32 v3, v3, v17
	v_lshl_or_b32 v16, v12, 12, v9
	v_cndmask_b32_e64 v9, 0, 1, vcc
	v_lshlrev_b32_e32 v11, v11, v18
	v_cmp_ne_u32_e32 vcc, v3, v13
	v_cndmask_b32_e64 v3, 0, 1, vcc
	v_cmp_ne_u32_e32 vcc, v11, v15
	v_cndmask_b32_e64 v11, 0, 1, vcc
	v_or_b32_e32 v3, v17, v3
	v_cmp_gt_i32_e32 vcc, 1, v5
	v_cndmask_b32_e32 v3, v14, v3, vcc
	v_or_b32_e32 v11, v18, v11
	v_cmp_gt_i32_e32 vcc, 1, v12
	v_and_b32_e32 v13, 7, v3
	v_cndmask_b32_e32 v11, v16, v11, vcc
	v_cmp_lt_i32_e32 vcc, 5, v13
	v_cmp_eq_u32_e64 s[0:1], 3, v13
	v_lshrrev_b32_e32 v3, 2, v3
	v_and_b32_e32 v14, 7, v11
	s_or_b64 vcc, s[0:1], vcc
	v_cmp_lt_i32_e64 s[2:3], 5, v14
	v_cmp_eq_u32_e64 s[4:5], 3, v14
	v_addc_co_u32_e32 v3, vcc, 0, v3, vcc
	v_lshrrev_b32_e32 v11, 2, v11
	s_or_b64 vcc, s[4:5], s[2:3]
	v_addc_co_u32_e32 v11, vcc, 0, v11, vcc
	v_cmp_gt_i32_e32 vcc, 31, v5
	v_cndmask_b32_e32 v3, v2, v3, vcc
	v_cmp_gt_i32_e32 vcc, 31, v12
	v_lshl_or_b32 v1, v1, 9, v2
	v_cndmask_b32_e32 v11, v2, v11, vcc
	v_cmp_eq_u32_e32 vcc, s11, v5
	v_lshrrev_b32_e32 v6, 16, v6
	v_lshl_or_b32 v9, v9, 9, v2
	v_cndmask_b32_e32 v1, v3, v1, vcc
	v_cmp_eq_u32_e32 vcc, s11, v12
	v_lshrrev_b32_e32 v10, 16, v10
	v_cndmask_b32_e32 v3, v11, v9, vcc
	v_and_or_b32 v1, v6, s14, v1
	v_and_or_b32 v3, v10, s14, v3
	v_and_b32_e32 v1, 0xffff, v1
	v_lshl_or_b32 v1, v3, 16, v1
	global_store_dword v[7:8], v1, off
	global_load_dword v1, v[21:22], off offset:356
	v_lshrrev_b32_e32 v3, 16, v4
	v_add_co_u32_e32 v7, vcc, s6, v7
	v_addc_co_u32_e32 v8, vcc, v8, v0, vcc
	s_waitcnt vmcnt(0)
	v_mul_f16_sdwa v5, v3, v1 dst_sel:DWORD dst_unused:UNUSED_PAD src0_sel:DWORD src1_sel:WORD_1
	v_fma_f16 v5, v4, v1, v5
	v_mul_f16_sdwa v4, v4, v1 dst_sel:DWORD dst_unused:UNUSED_PAD src0_sel:DWORD src1_sel:WORD_1
	v_cvt_f32_f16_e32 v5, v5
	v_fma_f16 v1, v1, v3, -v4
	v_cvt_f32_f16_e32 v1, v1
	v_cvt_f64_f32_e32 v[3:4], v5
	v_cvt_f64_f32_e32 v[5:6], v1
	v_mul_f64 v[3:4], v[3:4], s[12:13]
	v_mul_f64 v[5:6], v[5:6], s[12:13]
	v_and_or_b32 v1, v4, s15, v3
	v_cmp_ne_u32_e32 vcc, 0, v1
	v_and_or_b32 v5, v6, s15, v5
	v_lshrrev_b32_e32 v3, 8, v4
	v_bfe_u32 v9, v4, 20, 11
	v_cndmask_b32_e64 v1, 0, 1, vcc
	v_cmp_ne_u32_e32 vcc, 0, v5
	v_lshrrev_b32_e32 v10, 8, v6
	v_bfe_u32 v11, v6, 20, 11
	v_sub_u32_e32 v12, 0x3f1, v9
	v_cndmask_b32_e64 v5, 0, 1, vcc
	v_and_or_b32 v1, v3, s10, v1
	v_sub_u32_e32 v13, 0x3f1, v11
	v_med3_i32 v3, v12, 0, 13
	v_and_or_b32 v5, v10, s10, v5
	v_or_b32_e32 v12, 0x1000, v1
	v_add_u32_e32 v9, 0xfffffc10, v9
	v_med3_i32 v10, v13, 0, 13
	v_cmp_ne_u32_e32 vcc, 0, v1
	v_or_b32_e32 v14, 0x1000, v5
	v_lshrrev_b32_e32 v16, v3, v12
	v_add_u32_e32 v11, 0xfffffc10, v11
	v_lshl_or_b32 v13, v9, 12, v1
	v_cndmask_b32_e64 v1, 0, 1, vcc
	v_cmp_ne_u32_e32 vcc, 0, v5
	v_lshrrev_b32_e32 v17, v10, v14
	v_lshlrev_b32_e32 v3, v3, v16
	v_lshl_or_b32 v15, v11, 12, v5
	v_cndmask_b32_e64 v5, 0, 1, vcc
	v_lshlrev_b32_e32 v10, v10, v17
	v_cmp_ne_u32_e32 vcc, v3, v12
	v_cndmask_b32_e64 v3, 0, 1, vcc
	v_cmp_ne_u32_e32 vcc, v10, v14
	v_cndmask_b32_e64 v10, 0, 1, vcc
	v_or_b32_e32 v3, v16, v3
	v_cmp_gt_i32_e32 vcc, 1, v9
	v_cndmask_b32_e32 v3, v13, v3, vcc
	v_or_b32_e32 v10, v17, v10
	v_cmp_gt_i32_e32 vcc, 1, v11
	v_and_b32_e32 v12, 7, v3
	v_cndmask_b32_e32 v10, v15, v10, vcc
	v_cmp_lt_i32_e32 vcc, 5, v12
	v_cmp_eq_u32_e64 s[0:1], 3, v12
	v_lshrrev_b32_e32 v3, 2, v3
	v_and_b32_e32 v13, 7, v10
	s_or_b64 vcc, s[0:1], vcc
	v_cmp_lt_i32_e64 s[2:3], 5, v13
	v_cmp_eq_u32_e64 s[4:5], 3, v13
	v_addc_co_u32_e32 v3, vcc, 0, v3, vcc
	v_lshrrev_b32_e32 v10, 2, v10
	s_or_b64 vcc, s[4:5], s[2:3]
	v_addc_co_u32_e32 v10, vcc, 0, v10, vcc
	v_cmp_gt_i32_e32 vcc, 31, v9
	v_cndmask_b32_e32 v3, v2, v3, vcc
	v_cmp_gt_i32_e32 vcc, 31, v11
	v_lshl_or_b32 v1, v1, 9, v2
	v_cndmask_b32_e32 v10, v2, v10, vcc
	v_cmp_eq_u32_e32 vcc, s11, v9
	v_lshrrev_b32_e32 v4, 16, v4
	v_lshl_or_b32 v5, v5, 9, v2
	v_cndmask_b32_e32 v1, v3, v1, vcc
	v_cmp_eq_u32_e32 vcc, s11, v11
	v_lshrrev_b32_e32 v6, 16, v6
	v_cndmask_b32_e32 v3, v10, v5, vcc
	v_and_or_b32 v1, v4, s14, v1
	v_and_or_b32 v3, v6, s14, v3
	v_and_b32_e32 v1, 0xffff, v1
	v_lshl_or_b32 v1, v3, 16, v1
	global_store_dword v[7:8], v1, off
	global_load_dword v1, v[21:22], off offset:452
	ds_read2_b32 v[3:4], v70 offset0:113 offset1:137
	v_add_co_u32_e32 v7, vcc, s6, v7
	v_addc_co_u32_e32 v8, vcc, v8, v0, vcc
	s_waitcnt lgkmcnt(0)
	v_lshrrev_b32_e32 v5, 16, v3
	s_waitcnt vmcnt(0)
	v_mul_f16_sdwa v6, v5, v1 dst_sel:DWORD dst_unused:UNUSED_PAD src0_sel:DWORD src1_sel:WORD_1
	v_fma_f16 v6, v3, v1, v6
	v_mul_f16_sdwa v3, v3, v1 dst_sel:DWORD dst_unused:UNUSED_PAD src0_sel:DWORD src1_sel:WORD_1
	v_cvt_f32_f16_e32 v6, v6
	v_fma_f16 v1, v1, v5, -v3
	v_cvt_f32_f16_e32 v1, v1
	v_cvt_f64_f32_e32 v[5:6], v6
	v_cvt_f64_f32_e32 v[9:10], v1
	v_mul_f64 v[5:6], v[5:6], s[12:13]
	v_mul_f64 v[9:10], v[9:10], s[12:13]
	v_and_or_b32 v1, v6, s15, v5
	v_cmp_ne_u32_e32 vcc, 0, v1
	v_and_or_b32 v9, v10, s15, v9
	v_lshrrev_b32_e32 v3, 8, v6
	v_bfe_u32 v5, v6, 20, 11
	v_cndmask_b32_e64 v1, 0, 1, vcc
	v_cmp_ne_u32_e32 vcc, 0, v9
	v_lshrrev_b32_e32 v11, 8, v10
	v_bfe_u32 v12, v10, 20, 11
	v_sub_u32_e32 v13, 0x3f1, v5
	v_cndmask_b32_e64 v9, 0, 1, vcc
	v_and_or_b32 v1, v3, s10, v1
	v_sub_u32_e32 v14, 0x3f1, v12
	v_med3_i32 v3, v13, 0, 13
	v_and_or_b32 v9, v11, s10, v9
	v_or_b32_e32 v13, 0x1000, v1
	v_add_u32_e32 v5, 0xfffffc10, v5
	v_med3_i32 v11, v14, 0, 13
	v_cmp_ne_u32_e32 vcc, 0, v1
	v_or_b32_e32 v15, 0x1000, v9
	v_lshrrev_b32_e32 v17, v3, v13
	v_add_u32_e32 v12, 0xfffffc10, v12
	v_lshl_or_b32 v14, v5, 12, v1
	v_cndmask_b32_e64 v1, 0, 1, vcc
	v_cmp_ne_u32_e32 vcc, 0, v9
	v_lshrrev_b32_e32 v18, v11, v15
	v_lshlrev_b32_e32 v3, v3, v17
	v_lshl_or_b32 v16, v12, 12, v9
	v_cndmask_b32_e64 v9, 0, 1, vcc
	v_lshlrev_b32_e32 v11, v11, v18
	v_cmp_ne_u32_e32 vcc, v3, v13
	v_cndmask_b32_e64 v3, 0, 1, vcc
	v_cmp_ne_u32_e32 vcc, v11, v15
	v_cndmask_b32_e64 v11, 0, 1, vcc
	v_or_b32_e32 v3, v17, v3
	v_cmp_gt_i32_e32 vcc, 1, v5
	v_cndmask_b32_e32 v3, v14, v3, vcc
	v_or_b32_e32 v11, v18, v11
	v_cmp_gt_i32_e32 vcc, 1, v12
	v_and_b32_e32 v13, 7, v3
	v_cndmask_b32_e32 v11, v16, v11, vcc
	v_cmp_lt_i32_e32 vcc, 5, v13
	v_cmp_eq_u32_e64 s[0:1], 3, v13
	v_lshrrev_b32_e32 v3, 2, v3
	v_and_b32_e32 v14, 7, v11
	s_or_b64 vcc, s[0:1], vcc
	v_cmp_lt_i32_e64 s[2:3], 5, v14
	v_cmp_eq_u32_e64 s[4:5], 3, v14
	v_addc_co_u32_e32 v3, vcc, 0, v3, vcc
	v_lshrrev_b32_e32 v11, 2, v11
	s_or_b64 vcc, s[4:5], s[2:3]
	v_addc_co_u32_e32 v11, vcc, 0, v11, vcc
	v_cmp_gt_i32_e32 vcc, 31, v5
	v_cndmask_b32_e32 v3, v2, v3, vcc
	v_cmp_gt_i32_e32 vcc, 31, v12
	v_lshl_or_b32 v1, v1, 9, v2
	v_cndmask_b32_e32 v11, v2, v11, vcc
	v_cmp_eq_u32_e32 vcc, s11, v5
	v_lshrrev_b32_e32 v6, 16, v6
	v_lshl_or_b32 v9, v9, 9, v2
	v_cndmask_b32_e32 v1, v3, v1, vcc
	v_cmp_eq_u32_e32 vcc, s11, v12
	v_lshrrev_b32_e32 v10, 16, v10
	v_cndmask_b32_e32 v3, v11, v9, vcc
	v_and_or_b32 v1, v6, s14, v1
	v_and_or_b32 v3, v10, s14, v3
	v_and_b32_e32 v1, 0xffff, v1
	v_lshl_or_b32 v1, v3, 16, v1
	global_store_dword v[7:8], v1, off
	global_load_dword v1, v[21:22], off offset:548
	v_lshrrev_b32_e32 v3, 16, v4
	v_add_co_u32_e32 v7, vcc, s6, v7
	v_addc_co_u32_e32 v8, vcc, v8, v0, vcc
	s_waitcnt vmcnt(0)
	v_mul_f16_sdwa v5, v3, v1 dst_sel:DWORD dst_unused:UNUSED_PAD src0_sel:DWORD src1_sel:WORD_1
	v_fma_f16 v5, v4, v1, v5
	v_mul_f16_sdwa v4, v4, v1 dst_sel:DWORD dst_unused:UNUSED_PAD src0_sel:DWORD src1_sel:WORD_1
	v_cvt_f32_f16_e32 v5, v5
	v_fma_f16 v1, v1, v3, -v4
	v_cvt_f32_f16_e32 v1, v1
	v_cvt_f64_f32_e32 v[3:4], v5
	v_cvt_f64_f32_e32 v[5:6], v1
	v_mul_f64 v[3:4], v[3:4], s[12:13]
	v_mul_f64 v[5:6], v[5:6], s[12:13]
	v_and_or_b32 v1, v4, s15, v3
	v_cmp_ne_u32_e32 vcc, 0, v1
	v_and_or_b32 v5, v6, s15, v5
	v_lshrrev_b32_e32 v3, 8, v4
	v_bfe_u32 v9, v4, 20, 11
	v_cndmask_b32_e64 v1, 0, 1, vcc
	v_cmp_ne_u32_e32 vcc, 0, v5
	v_lshrrev_b32_e32 v10, 8, v6
	v_bfe_u32 v11, v6, 20, 11
	v_sub_u32_e32 v12, 0x3f1, v9
	v_cndmask_b32_e64 v5, 0, 1, vcc
	v_and_or_b32 v1, v3, s10, v1
	v_sub_u32_e32 v13, 0x3f1, v11
	v_med3_i32 v3, v12, 0, 13
	v_and_or_b32 v5, v10, s10, v5
	v_or_b32_e32 v12, 0x1000, v1
	v_add_u32_e32 v9, 0xfffffc10, v9
	v_med3_i32 v10, v13, 0, 13
	v_cmp_ne_u32_e32 vcc, 0, v1
	v_or_b32_e32 v14, 0x1000, v5
	v_lshrrev_b32_e32 v16, v3, v12
	v_add_u32_e32 v11, 0xfffffc10, v11
	v_lshl_or_b32 v13, v9, 12, v1
	v_cndmask_b32_e64 v1, 0, 1, vcc
	v_cmp_ne_u32_e32 vcc, 0, v5
	v_lshrrev_b32_e32 v17, v10, v14
	v_lshlrev_b32_e32 v3, v3, v16
	v_lshl_or_b32 v15, v11, 12, v5
	v_cndmask_b32_e64 v5, 0, 1, vcc
	v_lshlrev_b32_e32 v10, v10, v17
	v_cmp_ne_u32_e32 vcc, v3, v12
	v_cndmask_b32_e64 v3, 0, 1, vcc
	v_cmp_ne_u32_e32 vcc, v10, v14
	v_cndmask_b32_e64 v10, 0, 1, vcc
	v_or_b32_e32 v3, v16, v3
	v_cmp_gt_i32_e32 vcc, 1, v9
	v_cndmask_b32_e32 v3, v13, v3, vcc
	v_or_b32_e32 v10, v17, v10
	v_cmp_gt_i32_e32 vcc, 1, v11
	v_and_b32_e32 v12, 7, v3
	v_cndmask_b32_e32 v10, v15, v10, vcc
	v_cmp_lt_i32_e32 vcc, 5, v12
	v_cmp_eq_u32_e64 s[0:1], 3, v12
	v_lshrrev_b32_e32 v3, 2, v3
	v_and_b32_e32 v13, 7, v10
	s_or_b64 vcc, s[0:1], vcc
	v_cmp_lt_i32_e64 s[2:3], 5, v13
	v_cmp_eq_u32_e64 s[4:5], 3, v13
	v_addc_co_u32_e32 v3, vcc, 0, v3, vcc
	v_lshrrev_b32_e32 v10, 2, v10
	s_or_b64 vcc, s[4:5], s[2:3]
	v_addc_co_u32_e32 v10, vcc, 0, v10, vcc
	v_cmp_gt_i32_e32 vcc, 31, v9
	v_cndmask_b32_e32 v3, v2, v3, vcc
	v_cmp_gt_i32_e32 vcc, 31, v11
	v_lshl_or_b32 v1, v1, 9, v2
	v_cndmask_b32_e32 v10, v2, v10, vcc
	v_cmp_eq_u32_e32 vcc, s11, v9
	v_lshrrev_b32_e32 v4, 16, v4
	v_lshl_or_b32 v5, v5, 9, v2
	v_cndmask_b32_e32 v1, v3, v1, vcc
	v_cmp_eq_u32_e32 vcc, s11, v11
	v_lshrrev_b32_e32 v6, 16, v6
	v_cndmask_b32_e32 v3, v10, v5, vcc
	v_and_or_b32 v1, v4, s14, v1
	v_and_or_b32 v3, v6, s14, v3
	v_and_b32_e32 v1, 0xffff, v1
	v_lshl_or_b32 v1, v3, 16, v1
	global_store_dword v[7:8], v1, off
	global_load_dword v1, v[21:22], off offset:644
	ds_read2_b32 v[3:4], v70 offset0:161 offset1:185
	v_add_co_u32_e32 v7, vcc, s6, v7
	v_addc_co_u32_e32 v8, vcc, v8, v0, vcc
	s_waitcnt lgkmcnt(0)
	v_lshrrev_b32_e32 v5, 16, v3
	s_waitcnt vmcnt(0)
	v_mul_f16_sdwa v6, v5, v1 dst_sel:DWORD dst_unused:UNUSED_PAD src0_sel:DWORD src1_sel:WORD_1
	v_fma_f16 v6, v3, v1, v6
	v_mul_f16_sdwa v3, v3, v1 dst_sel:DWORD dst_unused:UNUSED_PAD src0_sel:DWORD src1_sel:WORD_1
	v_cvt_f32_f16_e32 v6, v6
	v_fma_f16 v1, v1, v5, -v3
	v_cvt_f32_f16_e32 v1, v1
	v_cvt_f64_f32_e32 v[5:6], v6
	v_cvt_f64_f32_e32 v[9:10], v1
	v_mul_f64 v[5:6], v[5:6], s[12:13]
	v_mul_f64 v[9:10], v[9:10], s[12:13]
	v_and_or_b32 v1, v6, s15, v5
	v_cmp_ne_u32_e32 vcc, 0, v1
	v_and_or_b32 v9, v10, s15, v9
	v_lshrrev_b32_e32 v3, 8, v6
	v_bfe_u32 v5, v6, 20, 11
	v_cndmask_b32_e64 v1, 0, 1, vcc
	v_cmp_ne_u32_e32 vcc, 0, v9
	v_lshrrev_b32_e32 v11, 8, v10
	v_bfe_u32 v12, v10, 20, 11
	v_sub_u32_e32 v13, 0x3f1, v5
	v_cndmask_b32_e64 v9, 0, 1, vcc
	v_and_or_b32 v1, v3, s10, v1
	v_sub_u32_e32 v14, 0x3f1, v12
	v_med3_i32 v3, v13, 0, 13
	v_and_or_b32 v9, v11, s10, v9
	v_or_b32_e32 v13, 0x1000, v1
	v_add_u32_e32 v5, 0xfffffc10, v5
	v_med3_i32 v11, v14, 0, 13
	v_cmp_ne_u32_e32 vcc, 0, v1
	v_or_b32_e32 v15, 0x1000, v9
	v_lshrrev_b32_e32 v17, v3, v13
	v_add_u32_e32 v12, 0xfffffc10, v12
	v_lshl_or_b32 v14, v5, 12, v1
	v_cndmask_b32_e64 v1, 0, 1, vcc
	v_cmp_ne_u32_e32 vcc, 0, v9
	v_lshrrev_b32_e32 v18, v11, v15
	v_lshlrev_b32_e32 v3, v3, v17
	v_lshl_or_b32 v16, v12, 12, v9
	v_cndmask_b32_e64 v9, 0, 1, vcc
	v_lshlrev_b32_e32 v11, v11, v18
	v_cmp_ne_u32_e32 vcc, v3, v13
	v_cndmask_b32_e64 v3, 0, 1, vcc
	v_cmp_ne_u32_e32 vcc, v11, v15
	v_cndmask_b32_e64 v11, 0, 1, vcc
	v_or_b32_e32 v3, v17, v3
	v_cmp_gt_i32_e32 vcc, 1, v5
	v_cndmask_b32_e32 v3, v14, v3, vcc
	v_or_b32_e32 v11, v18, v11
	v_cmp_gt_i32_e32 vcc, 1, v12
	v_and_b32_e32 v13, 7, v3
	v_cndmask_b32_e32 v11, v16, v11, vcc
	v_cmp_lt_i32_e32 vcc, 5, v13
	v_cmp_eq_u32_e64 s[0:1], 3, v13
	v_lshrrev_b32_e32 v3, 2, v3
	v_and_b32_e32 v14, 7, v11
	s_or_b64 vcc, s[0:1], vcc
	v_cmp_lt_i32_e64 s[2:3], 5, v14
	v_cmp_eq_u32_e64 s[4:5], 3, v14
	v_addc_co_u32_e32 v3, vcc, 0, v3, vcc
	v_lshrrev_b32_e32 v11, 2, v11
	s_or_b64 vcc, s[4:5], s[2:3]
	v_addc_co_u32_e32 v11, vcc, 0, v11, vcc
	v_cmp_gt_i32_e32 vcc, 31, v5
	v_cndmask_b32_e32 v3, v2, v3, vcc
	v_cmp_gt_i32_e32 vcc, 31, v12
	v_lshl_or_b32 v1, v1, 9, v2
	v_cndmask_b32_e32 v11, v2, v11, vcc
	v_cmp_eq_u32_e32 vcc, s11, v5
	v_lshrrev_b32_e32 v6, 16, v6
	v_lshl_or_b32 v9, v9, 9, v2
	v_cndmask_b32_e32 v1, v3, v1, vcc
	v_cmp_eq_u32_e32 vcc, s11, v12
	v_lshrrev_b32_e32 v10, 16, v10
	v_cndmask_b32_e32 v3, v11, v9, vcc
	v_and_or_b32 v1, v6, s14, v1
	v_and_or_b32 v3, v10, s14, v3
	v_and_b32_e32 v1, 0xffff, v1
	v_lshl_or_b32 v1, v3, 16, v1
	global_store_dword v[7:8], v1, off
	global_load_dword v1, v[21:22], off offset:740
	v_lshrrev_b32_e32 v3, 16, v4
	v_add_co_u32_e32 v7, vcc, s6, v7
	v_addc_co_u32_e32 v8, vcc, v8, v0, vcc
	s_waitcnt vmcnt(0)
	v_mul_f16_sdwa v5, v3, v1 dst_sel:DWORD dst_unused:UNUSED_PAD src0_sel:DWORD src1_sel:WORD_1
	v_fma_f16 v5, v4, v1, v5
	v_mul_f16_sdwa v4, v4, v1 dst_sel:DWORD dst_unused:UNUSED_PAD src0_sel:DWORD src1_sel:WORD_1
	v_cvt_f32_f16_e32 v5, v5
	v_fma_f16 v1, v1, v3, -v4
	v_cvt_f32_f16_e32 v1, v1
	v_cvt_f64_f32_e32 v[3:4], v5
	v_cvt_f64_f32_e32 v[5:6], v1
	v_mul_f64 v[3:4], v[3:4], s[12:13]
	v_mul_f64 v[5:6], v[5:6], s[12:13]
	v_and_or_b32 v1, v4, s15, v3
	v_cmp_ne_u32_e32 vcc, 0, v1
	v_and_or_b32 v5, v6, s15, v5
	v_lshrrev_b32_e32 v3, 8, v4
	v_bfe_u32 v9, v4, 20, 11
	v_cndmask_b32_e64 v1, 0, 1, vcc
	v_cmp_ne_u32_e32 vcc, 0, v5
	v_lshrrev_b32_e32 v10, 8, v6
	v_bfe_u32 v11, v6, 20, 11
	v_sub_u32_e32 v12, 0x3f1, v9
	v_cndmask_b32_e64 v5, 0, 1, vcc
	v_and_or_b32 v1, v3, s10, v1
	v_sub_u32_e32 v13, 0x3f1, v11
	v_med3_i32 v3, v12, 0, 13
	v_and_or_b32 v5, v10, s10, v5
	v_or_b32_e32 v12, 0x1000, v1
	v_add_u32_e32 v9, 0xfffffc10, v9
	v_med3_i32 v10, v13, 0, 13
	v_cmp_ne_u32_e32 vcc, 0, v1
	v_or_b32_e32 v14, 0x1000, v5
	v_lshrrev_b32_e32 v16, v3, v12
	v_add_u32_e32 v11, 0xfffffc10, v11
	v_lshl_or_b32 v13, v9, 12, v1
	v_cndmask_b32_e64 v1, 0, 1, vcc
	v_cmp_ne_u32_e32 vcc, 0, v5
	v_lshrrev_b32_e32 v17, v10, v14
	v_lshlrev_b32_e32 v3, v3, v16
	v_lshl_or_b32 v15, v11, 12, v5
	v_cndmask_b32_e64 v5, 0, 1, vcc
	v_lshlrev_b32_e32 v10, v10, v17
	v_cmp_ne_u32_e32 vcc, v3, v12
	v_cndmask_b32_e64 v3, 0, 1, vcc
	v_cmp_ne_u32_e32 vcc, v10, v14
	v_cndmask_b32_e64 v10, 0, 1, vcc
	v_or_b32_e32 v3, v16, v3
	v_cmp_gt_i32_e32 vcc, 1, v9
	v_cndmask_b32_e32 v3, v13, v3, vcc
	v_or_b32_e32 v10, v17, v10
	v_cmp_gt_i32_e32 vcc, 1, v11
	v_and_b32_e32 v12, 7, v3
	v_cndmask_b32_e32 v10, v15, v10, vcc
	v_cmp_lt_i32_e32 vcc, 5, v12
	v_cmp_eq_u32_e64 s[0:1], 3, v12
	v_lshrrev_b32_e32 v3, 2, v3
	v_and_b32_e32 v13, 7, v10
	s_or_b64 vcc, s[0:1], vcc
	v_cmp_lt_i32_e64 s[2:3], 5, v13
	v_cmp_eq_u32_e64 s[4:5], 3, v13
	v_addc_co_u32_e32 v3, vcc, 0, v3, vcc
	v_lshrrev_b32_e32 v10, 2, v10
	s_or_b64 vcc, s[4:5], s[2:3]
	v_addc_co_u32_e32 v10, vcc, 0, v10, vcc
	v_cmp_gt_i32_e32 vcc, 31, v9
	v_cndmask_b32_e32 v3, v2, v3, vcc
	v_cmp_gt_i32_e32 vcc, 31, v11
	v_lshl_or_b32 v1, v1, 9, v2
	v_cndmask_b32_e32 v10, v2, v10, vcc
	v_cmp_eq_u32_e32 vcc, s11, v9
	v_lshrrev_b32_e32 v4, 16, v4
	v_lshl_or_b32 v5, v5, 9, v2
	v_cndmask_b32_e32 v1, v3, v1, vcc
	v_cmp_eq_u32_e32 vcc, s11, v11
	v_lshrrev_b32_e32 v6, 16, v6
	v_cndmask_b32_e32 v3, v10, v5, vcc
	v_and_or_b32 v1, v4, s14, v1
	v_and_or_b32 v3, v6, s14, v3
	v_and_b32_e32 v1, 0xffff, v1
	v_lshl_or_b32 v1, v3, 16, v1
	global_store_dword v[7:8], v1, off
	global_load_dword v1, v[21:22], off offset:836
	ds_read2_b32 v[3:4], v70 offset0:209 offset1:233
	v_add_co_u32_e32 v7, vcc, s6, v7
	v_addc_co_u32_e32 v8, vcc, v8, v0, vcc
	s_waitcnt lgkmcnt(0)
	v_lshrrev_b32_e32 v5, 16, v3
	s_waitcnt vmcnt(0)
	v_mul_f16_sdwa v6, v5, v1 dst_sel:DWORD dst_unused:UNUSED_PAD src0_sel:DWORD src1_sel:WORD_1
	v_fma_f16 v6, v3, v1, v6
	v_mul_f16_sdwa v3, v3, v1 dst_sel:DWORD dst_unused:UNUSED_PAD src0_sel:DWORD src1_sel:WORD_1
	v_cvt_f32_f16_e32 v6, v6
	v_fma_f16 v1, v1, v5, -v3
	v_cvt_f32_f16_e32 v1, v1
	v_cvt_f64_f32_e32 v[5:6], v6
	v_cvt_f64_f32_e32 v[9:10], v1
	v_mul_f64 v[5:6], v[5:6], s[12:13]
	v_mul_f64 v[9:10], v[9:10], s[12:13]
	v_and_or_b32 v1, v6, s15, v5
	v_cmp_ne_u32_e32 vcc, 0, v1
	v_and_or_b32 v9, v10, s15, v9
	v_lshrrev_b32_e32 v3, 8, v6
	v_bfe_u32 v5, v6, 20, 11
	v_cndmask_b32_e64 v1, 0, 1, vcc
	v_cmp_ne_u32_e32 vcc, 0, v9
	v_lshrrev_b32_e32 v11, 8, v10
	v_bfe_u32 v12, v10, 20, 11
	v_sub_u32_e32 v13, 0x3f1, v5
	v_cndmask_b32_e64 v9, 0, 1, vcc
	v_and_or_b32 v1, v3, s10, v1
	v_sub_u32_e32 v14, 0x3f1, v12
	v_med3_i32 v3, v13, 0, 13
	v_and_or_b32 v9, v11, s10, v9
	v_or_b32_e32 v13, 0x1000, v1
	v_add_u32_e32 v5, 0xfffffc10, v5
	v_med3_i32 v11, v14, 0, 13
	v_cmp_ne_u32_e32 vcc, 0, v1
	v_or_b32_e32 v15, 0x1000, v9
	v_lshrrev_b32_e32 v17, v3, v13
	v_add_u32_e32 v12, 0xfffffc10, v12
	v_lshl_or_b32 v14, v5, 12, v1
	v_cndmask_b32_e64 v1, 0, 1, vcc
	v_cmp_ne_u32_e32 vcc, 0, v9
	v_lshrrev_b32_e32 v18, v11, v15
	v_lshlrev_b32_e32 v3, v3, v17
	v_lshl_or_b32 v16, v12, 12, v9
	v_cndmask_b32_e64 v9, 0, 1, vcc
	v_lshlrev_b32_e32 v11, v11, v18
	v_cmp_ne_u32_e32 vcc, v3, v13
	v_cndmask_b32_e64 v3, 0, 1, vcc
	v_cmp_ne_u32_e32 vcc, v11, v15
	v_cndmask_b32_e64 v11, 0, 1, vcc
	v_or_b32_e32 v3, v17, v3
	v_cmp_gt_i32_e32 vcc, 1, v5
	v_cndmask_b32_e32 v3, v14, v3, vcc
	v_or_b32_e32 v11, v18, v11
	v_cmp_gt_i32_e32 vcc, 1, v12
	v_and_b32_e32 v13, 7, v3
	v_cndmask_b32_e32 v11, v16, v11, vcc
	v_cmp_lt_i32_e32 vcc, 5, v13
	v_cmp_eq_u32_e64 s[0:1], 3, v13
	v_lshrrev_b32_e32 v3, 2, v3
	v_and_b32_e32 v14, 7, v11
	s_or_b64 vcc, s[0:1], vcc
	v_cmp_lt_i32_e64 s[2:3], 5, v14
	v_cmp_eq_u32_e64 s[4:5], 3, v14
	v_addc_co_u32_e32 v3, vcc, 0, v3, vcc
	v_lshrrev_b32_e32 v11, 2, v11
	s_or_b64 vcc, s[4:5], s[2:3]
	v_addc_co_u32_e32 v11, vcc, 0, v11, vcc
	v_cmp_gt_i32_e32 vcc, 31, v5
	v_cndmask_b32_e32 v3, v2, v3, vcc
	v_cmp_gt_i32_e32 vcc, 31, v12
	v_lshl_or_b32 v1, v1, 9, v2
	v_cndmask_b32_e32 v11, v2, v11, vcc
	v_cmp_eq_u32_e32 vcc, s11, v5
	v_lshrrev_b32_e32 v6, 16, v6
	v_lshl_or_b32 v9, v9, 9, v2
	v_cndmask_b32_e32 v1, v3, v1, vcc
	v_cmp_eq_u32_e32 vcc, s11, v12
	v_lshrrev_b32_e32 v10, 16, v10
	v_cndmask_b32_e32 v3, v11, v9, vcc
	v_and_or_b32 v1, v6, s14, v1
	v_and_or_b32 v3, v10, s14, v3
	v_and_b32_e32 v1, 0xffff, v1
	v_lshl_or_b32 v1, v3, 16, v1
	global_store_dword v[7:8], v1, off
	global_load_dword v1, v[21:22], off offset:932
	v_lshrrev_b32_e32 v3, 16, v4
	v_add_co_u32_e32 v7, vcc, s6, v7
	v_addc_co_u32_e32 v8, vcc, v8, v0, vcc
	s_waitcnt vmcnt(0)
	v_mul_f16_sdwa v5, v3, v1 dst_sel:DWORD dst_unused:UNUSED_PAD src0_sel:DWORD src1_sel:WORD_1
	v_fma_f16 v5, v4, v1, v5
	v_mul_f16_sdwa v4, v4, v1 dst_sel:DWORD dst_unused:UNUSED_PAD src0_sel:DWORD src1_sel:WORD_1
	v_cvt_f32_f16_e32 v5, v5
	v_fma_f16 v1, v1, v3, -v4
	v_cvt_f32_f16_e32 v1, v1
	v_cvt_f64_f32_e32 v[3:4], v5
	v_cvt_f64_f32_e32 v[5:6], v1
	v_mul_f64 v[3:4], v[3:4], s[12:13]
	v_mul_f64 v[5:6], v[5:6], s[12:13]
	v_and_or_b32 v1, v4, s15, v3
	v_cmp_ne_u32_e32 vcc, 0, v1
	v_and_or_b32 v5, v6, s15, v5
	v_lshrrev_b32_e32 v3, 8, v4
	v_bfe_u32 v9, v4, 20, 11
	v_cndmask_b32_e64 v1, 0, 1, vcc
	v_cmp_ne_u32_e32 vcc, 0, v5
	v_lshrrev_b32_e32 v10, 8, v6
	v_bfe_u32 v11, v6, 20, 11
	v_sub_u32_e32 v12, 0x3f1, v9
	v_cndmask_b32_e64 v5, 0, 1, vcc
	v_and_or_b32 v1, v3, s10, v1
	v_sub_u32_e32 v13, 0x3f1, v11
	v_med3_i32 v3, v12, 0, 13
	v_and_or_b32 v5, v10, s10, v5
	v_or_b32_e32 v12, 0x1000, v1
	v_add_u32_e32 v9, 0xfffffc10, v9
	v_med3_i32 v10, v13, 0, 13
	v_cmp_ne_u32_e32 vcc, 0, v1
	v_or_b32_e32 v14, 0x1000, v5
	v_lshrrev_b32_e32 v16, v3, v12
	v_add_u32_e32 v11, 0xfffffc10, v11
	v_lshl_or_b32 v13, v9, 12, v1
	v_cndmask_b32_e64 v1, 0, 1, vcc
	v_cmp_ne_u32_e32 vcc, 0, v5
	v_lshrrev_b32_e32 v17, v10, v14
	v_lshlrev_b32_e32 v3, v3, v16
	v_lshl_or_b32 v15, v11, 12, v5
	v_cndmask_b32_e64 v5, 0, 1, vcc
	v_lshlrev_b32_e32 v10, v10, v17
	v_cmp_ne_u32_e32 vcc, v3, v12
	v_cndmask_b32_e64 v3, 0, 1, vcc
	v_cmp_ne_u32_e32 vcc, v10, v14
	v_cndmask_b32_e64 v10, 0, 1, vcc
	v_or_b32_e32 v3, v16, v3
	v_cmp_gt_i32_e32 vcc, 1, v9
	v_cndmask_b32_e32 v3, v13, v3, vcc
	v_or_b32_e32 v10, v17, v10
	v_cmp_gt_i32_e32 vcc, 1, v11
	v_and_b32_e32 v12, 7, v3
	v_cndmask_b32_e32 v10, v15, v10, vcc
	v_cmp_lt_i32_e32 vcc, 5, v12
	v_cmp_eq_u32_e64 s[0:1], 3, v12
	v_lshrrev_b32_e32 v3, 2, v3
	v_and_b32_e32 v13, 7, v10
	s_or_b64 vcc, s[0:1], vcc
	v_cmp_lt_i32_e64 s[2:3], 5, v13
	v_cmp_eq_u32_e64 s[4:5], 3, v13
	v_addc_co_u32_e32 v3, vcc, 0, v3, vcc
	v_lshrrev_b32_e32 v10, 2, v10
	s_or_b64 vcc, s[4:5], s[2:3]
	v_addc_co_u32_e32 v10, vcc, 0, v10, vcc
	v_cmp_gt_i32_e32 vcc, 31, v9
	v_cndmask_b32_e32 v3, v2, v3, vcc
	v_cmp_gt_i32_e32 vcc, 31, v11
	v_lshl_or_b32 v1, v1, 9, v2
	v_cndmask_b32_e32 v10, v2, v10, vcc
	v_cmp_eq_u32_e32 vcc, s11, v9
	v_lshrrev_b32_e32 v4, 16, v4
	v_lshl_or_b32 v5, v5, 9, v2
	v_cndmask_b32_e32 v1, v3, v1, vcc
	v_cmp_eq_u32_e32 vcc, s11, v11
	v_lshrrev_b32_e32 v6, 16, v6
	v_cndmask_b32_e32 v3, v10, v5, vcc
	v_and_or_b32 v1, v4, s14, v1
	v_and_or_b32 v3, v6, s14, v3
	v_and_b32_e32 v1, 0xffff, v1
	v_lshl_or_b32 v1, v3, 16, v1
	global_store_dword v[7:8], v1, off
	global_load_dword v1, v[21:22], off offset:1028
	ds_read2_b32 v[3:4], v24 offset0:1 offset1:25
	v_add_co_u32_e32 v7, vcc, s6, v7
	v_addc_co_u32_e32 v8, vcc, v8, v0, vcc
	s_waitcnt lgkmcnt(0)
	v_lshrrev_b32_e32 v5, 16, v3
	s_waitcnt vmcnt(0)
	v_mul_f16_sdwa v6, v5, v1 dst_sel:DWORD dst_unused:UNUSED_PAD src0_sel:DWORD src1_sel:WORD_1
	v_fma_f16 v6, v3, v1, v6
	v_mul_f16_sdwa v3, v3, v1 dst_sel:DWORD dst_unused:UNUSED_PAD src0_sel:DWORD src1_sel:WORD_1
	v_cvt_f32_f16_e32 v6, v6
	v_fma_f16 v1, v1, v5, -v3
	v_cvt_f32_f16_e32 v1, v1
	v_cvt_f64_f32_e32 v[5:6], v6
	v_cvt_f64_f32_e32 v[9:10], v1
	v_mul_f64 v[5:6], v[5:6], s[12:13]
	v_mul_f64 v[9:10], v[9:10], s[12:13]
	v_and_or_b32 v1, v6, s15, v5
	v_cmp_ne_u32_e32 vcc, 0, v1
	v_and_or_b32 v9, v10, s15, v9
	v_lshrrev_b32_e32 v3, 8, v6
	v_bfe_u32 v5, v6, 20, 11
	v_cndmask_b32_e64 v1, 0, 1, vcc
	v_cmp_ne_u32_e32 vcc, 0, v9
	v_lshrrev_b32_e32 v11, 8, v10
	v_bfe_u32 v12, v10, 20, 11
	v_sub_u32_e32 v13, 0x3f1, v5
	v_cndmask_b32_e64 v9, 0, 1, vcc
	v_and_or_b32 v1, v3, s10, v1
	v_sub_u32_e32 v14, 0x3f1, v12
	v_med3_i32 v3, v13, 0, 13
	v_and_or_b32 v9, v11, s10, v9
	v_or_b32_e32 v13, 0x1000, v1
	v_add_u32_e32 v5, 0xfffffc10, v5
	v_med3_i32 v11, v14, 0, 13
	v_cmp_ne_u32_e32 vcc, 0, v1
	v_or_b32_e32 v15, 0x1000, v9
	v_lshrrev_b32_e32 v17, v3, v13
	v_add_u32_e32 v12, 0xfffffc10, v12
	v_lshl_or_b32 v14, v5, 12, v1
	v_cndmask_b32_e64 v1, 0, 1, vcc
	v_cmp_ne_u32_e32 vcc, 0, v9
	v_lshrrev_b32_e32 v18, v11, v15
	v_lshlrev_b32_e32 v3, v3, v17
	v_lshl_or_b32 v16, v12, 12, v9
	v_cndmask_b32_e64 v9, 0, 1, vcc
	v_lshlrev_b32_e32 v11, v11, v18
	v_cmp_ne_u32_e32 vcc, v3, v13
	v_cndmask_b32_e64 v3, 0, 1, vcc
	v_cmp_ne_u32_e32 vcc, v11, v15
	v_cndmask_b32_e64 v11, 0, 1, vcc
	v_or_b32_e32 v3, v17, v3
	v_cmp_gt_i32_e32 vcc, 1, v5
	v_cndmask_b32_e32 v3, v14, v3, vcc
	v_or_b32_e32 v11, v18, v11
	v_cmp_gt_i32_e32 vcc, 1, v12
	v_and_b32_e32 v13, 7, v3
	v_cndmask_b32_e32 v11, v16, v11, vcc
	v_cmp_lt_i32_e32 vcc, 5, v13
	v_cmp_eq_u32_e64 s[0:1], 3, v13
	v_lshrrev_b32_e32 v3, 2, v3
	v_and_b32_e32 v14, 7, v11
	s_or_b64 vcc, s[0:1], vcc
	v_cmp_lt_i32_e64 s[2:3], 5, v14
	v_cmp_eq_u32_e64 s[4:5], 3, v14
	v_addc_co_u32_e32 v3, vcc, 0, v3, vcc
	v_lshrrev_b32_e32 v11, 2, v11
	s_or_b64 vcc, s[4:5], s[2:3]
	v_addc_co_u32_e32 v11, vcc, 0, v11, vcc
	v_cmp_gt_i32_e32 vcc, 31, v5
	v_cndmask_b32_e32 v3, v2, v3, vcc
	v_cmp_gt_i32_e32 vcc, 31, v12
	v_lshl_or_b32 v1, v1, 9, v2
	v_cndmask_b32_e32 v11, v2, v11, vcc
	v_cmp_eq_u32_e32 vcc, s11, v5
	v_lshrrev_b32_e32 v6, 16, v6
	v_lshl_or_b32 v9, v9, 9, v2
	v_cndmask_b32_e32 v1, v3, v1, vcc
	v_cmp_eq_u32_e32 vcc, s11, v12
	v_lshrrev_b32_e32 v10, 16, v10
	v_cndmask_b32_e32 v3, v11, v9, vcc
	v_and_or_b32 v1, v6, s14, v1
	v_and_or_b32 v3, v10, s14, v3
	v_and_b32_e32 v1, 0xffff, v1
	v_lshl_or_b32 v1, v3, 16, v1
	global_store_dword v[7:8], v1, off
	global_load_dword v1, v[21:22], off offset:1124
	v_lshrrev_b32_e32 v3, 16, v4
	v_add_co_u32_e32 v7, vcc, s6, v7
	v_addc_co_u32_e32 v8, vcc, v8, v0, vcc
	s_waitcnt vmcnt(0)
	v_mul_f16_sdwa v5, v3, v1 dst_sel:DWORD dst_unused:UNUSED_PAD src0_sel:DWORD src1_sel:WORD_1
	v_fma_f16 v5, v4, v1, v5
	v_mul_f16_sdwa v4, v4, v1 dst_sel:DWORD dst_unused:UNUSED_PAD src0_sel:DWORD src1_sel:WORD_1
	v_cvt_f32_f16_e32 v5, v5
	v_fma_f16 v1, v1, v3, -v4
	v_cvt_f32_f16_e32 v1, v1
	v_cvt_f64_f32_e32 v[3:4], v5
	v_cvt_f64_f32_e32 v[5:6], v1
	v_mul_f64 v[3:4], v[3:4], s[12:13]
	v_mul_f64 v[5:6], v[5:6], s[12:13]
	v_and_or_b32 v1, v4, s15, v3
	v_cmp_ne_u32_e32 vcc, 0, v1
	v_and_or_b32 v5, v6, s15, v5
	v_lshrrev_b32_e32 v3, 8, v4
	v_bfe_u32 v9, v4, 20, 11
	v_cndmask_b32_e64 v1, 0, 1, vcc
	v_cmp_ne_u32_e32 vcc, 0, v5
	v_lshrrev_b32_e32 v10, 8, v6
	v_bfe_u32 v11, v6, 20, 11
	v_sub_u32_e32 v12, 0x3f1, v9
	v_cndmask_b32_e64 v5, 0, 1, vcc
	v_and_or_b32 v1, v3, s10, v1
	v_sub_u32_e32 v13, 0x3f1, v11
	v_med3_i32 v3, v12, 0, 13
	v_and_or_b32 v5, v10, s10, v5
	v_or_b32_e32 v12, 0x1000, v1
	v_add_u32_e32 v9, 0xfffffc10, v9
	v_med3_i32 v10, v13, 0, 13
	v_cmp_ne_u32_e32 vcc, 0, v1
	v_or_b32_e32 v14, 0x1000, v5
	v_lshrrev_b32_e32 v16, v3, v12
	v_add_u32_e32 v11, 0xfffffc10, v11
	v_lshl_or_b32 v13, v9, 12, v1
	v_cndmask_b32_e64 v1, 0, 1, vcc
	v_cmp_ne_u32_e32 vcc, 0, v5
	v_lshrrev_b32_e32 v17, v10, v14
	v_lshlrev_b32_e32 v3, v3, v16
	v_lshl_or_b32 v15, v11, 12, v5
	v_cndmask_b32_e64 v5, 0, 1, vcc
	v_lshlrev_b32_e32 v10, v10, v17
	v_cmp_ne_u32_e32 vcc, v3, v12
	v_cndmask_b32_e64 v3, 0, 1, vcc
	v_cmp_ne_u32_e32 vcc, v10, v14
	v_cndmask_b32_e64 v10, 0, 1, vcc
	v_or_b32_e32 v3, v16, v3
	v_cmp_gt_i32_e32 vcc, 1, v9
	v_cndmask_b32_e32 v3, v13, v3, vcc
	v_or_b32_e32 v10, v17, v10
	v_cmp_gt_i32_e32 vcc, 1, v11
	v_and_b32_e32 v12, 7, v3
	v_cndmask_b32_e32 v10, v15, v10, vcc
	v_cmp_lt_i32_e32 vcc, 5, v12
	v_cmp_eq_u32_e64 s[0:1], 3, v12
	v_lshrrev_b32_e32 v3, 2, v3
	v_and_b32_e32 v13, 7, v10
	s_or_b64 vcc, s[0:1], vcc
	v_cmp_lt_i32_e64 s[2:3], 5, v13
	v_cmp_eq_u32_e64 s[4:5], 3, v13
	v_addc_co_u32_e32 v3, vcc, 0, v3, vcc
	v_lshrrev_b32_e32 v10, 2, v10
	s_or_b64 vcc, s[4:5], s[2:3]
	v_addc_co_u32_e32 v10, vcc, 0, v10, vcc
	v_cmp_gt_i32_e32 vcc, 31, v9
	v_cndmask_b32_e32 v3, v2, v3, vcc
	v_cmp_gt_i32_e32 vcc, 31, v11
	v_lshl_or_b32 v1, v1, 9, v2
	v_cndmask_b32_e32 v10, v2, v10, vcc
	v_cmp_eq_u32_e32 vcc, s11, v9
	v_lshrrev_b32_e32 v4, 16, v4
	v_lshl_or_b32 v5, v5, 9, v2
	v_cndmask_b32_e32 v1, v3, v1, vcc
	v_cmp_eq_u32_e32 vcc, s11, v11
	v_lshrrev_b32_e32 v6, 16, v6
	v_cndmask_b32_e32 v3, v10, v5, vcc
	v_and_or_b32 v1, v4, s14, v1
	v_and_or_b32 v3, v6, s14, v3
	v_and_b32_e32 v1, 0xffff, v1
	v_lshl_or_b32 v1, v3, 16, v1
	global_store_dword v[7:8], v1, off
	global_load_dword v1, v[21:22], off offset:1220
	ds_read2_b32 v[3:4], v24 offset0:49 offset1:73
	v_add_co_u32_e32 v7, vcc, s6, v7
	v_addc_co_u32_e32 v8, vcc, v8, v0, vcc
	s_waitcnt lgkmcnt(0)
	v_lshrrev_b32_e32 v5, 16, v3
	s_waitcnt vmcnt(0)
	v_mul_f16_sdwa v6, v5, v1 dst_sel:DWORD dst_unused:UNUSED_PAD src0_sel:DWORD src1_sel:WORD_1
	v_fma_f16 v6, v3, v1, v6
	v_mul_f16_sdwa v3, v3, v1 dst_sel:DWORD dst_unused:UNUSED_PAD src0_sel:DWORD src1_sel:WORD_1
	v_cvt_f32_f16_e32 v6, v6
	v_fma_f16 v1, v1, v5, -v3
	v_cvt_f32_f16_e32 v1, v1
	v_cvt_f64_f32_e32 v[5:6], v6
	v_cvt_f64_f32_e32 v[9:10], v1
	v_mul_f64 v[5:6], v[5:6], s[12:13]
	v_mul_f64 v[9:10], v[9:10], s[12:13]
	v_and_or_b32 v1, v6, s15, v5
	v_cmp_ne_u32_e32 vcc, 0, v1
	v_and_or_b32 v9, v10, s15, v9
	v_lshrrev_b32_e32 v3, 8, v6
	v_bfe_u32 v5, v6, 20, 11
	v_cndmask_b32_e64 v1, 0, 1, vcc
	v_cmp_ne_u32_e32 vcc, 0, v9
	v_lshrrev_b32_e32 v11, 8, v10
	v_bfe_u32 v12, v10, 20, 11
	v_sub_u32_e32 v13, 0x3f1, v5
	v_cndmask_b32_e64 v9, 0, 1, vcc
	v_and_or_b32 v1, v3, s10, v1
	v_sub_u32_e32 v14, 0x3f1, v12
	v_med3_i32 v3, v13, 0, 13
	v_and_or_b32 v9, v11, s10, v9
	v_or_b32_e32 v13, 0x1000, v1
	v_add_u32_e32 v5, 0xfffffc10, v5
	v_med3_i32 v11, v14, 0, 13
	v_cmp_ne_u32_e32 vcc, 0, v1
	v_or_b32_e32 v15, 0x1000, v9
	v_lshrrev_b32_e32 v17, v3, v13
	v_add_u32_e32 v12, 0xfffffc10, v12
	v_lshl_or_b32 v14, v5, 12, v1
	v_cndmask_b32_e64 v1, 0, 1, vcc
	v_cmp_ne_u32_e32 vcc, 0, v9
	v_lshrrev_b32_e32 v18, v11, v15
	v_lshlrev_b32_e32 v3, v3, v17
	v_lshl_or_b32 v16, v12, 12, v9
	v_cndmask_b32_e64 v9, 0, 1, vcc
	v_lshlrev_b32_e32 v11, v11, v18
	v_cmp_ne_u32_e32 vcc, v3, v13
	v_cndmask_b32_e64 v3, 0, 1, vcc
	v_cmp_ne_u32_e32 vcc, v11, v15
	v_cndmask_b32_e64 v11, 0, 1, vcc
	v_or_b32_e32 v3, v17, v3
	v_cmp_gt_i32_e32 vcc, 1, v5
	v_cndmask_b32_e32 v3, v14, v3, vcc
	v_or_b32_e32 v11, v18, v11
	v_cmp_gt_i32_e32 vcc, 1, v12
	v_and_b32_e32 v13, 7, v3
	v_cndmask_b32_e32 v11, v16, v11, vcc
	v_cmp_lt_i32_e32 vcc, 5, v13
	v_cmp_eq_u32_e64 s[0:1], 3, v13
	v_lshrrev_b32_e32 v3, 2, v3
	v_and_b32_e32 v14, 7, v11
	s_or_b64 vcc, s[0:1], vcc
	v_cmp_lt_i32_e64 s[2:3], 5, v14
	v_cmp_eq_u32_e64 s[4:5], 3, v14
	v_addc_co_u32_e32 v3, vcc, 0, v3, vcc
	v_lshrrev_b32_e32 v11, 2, v11
	s_or_b64 vcc, s[4:5], s[2:3]
	v_addc_co_u32_e32 v11, vcc, 0, v11, vcc
	v_cmp_gt_i32_e32 vcc, 31, v5
	v_cndmask_b32_e32 v3, v2, v3, vcc
	v_cmp_gt_i32_e32 vcc, 31, v12
	v_lshl_or_b32 v1, v1, 9, v2
	v_cndmask_b32_e32 v11, v2, v11, vcc
	v_cmp_eq_u32_e32 vcc, s11, v5
	v_lshrrev_b32_e32 v6, 16, v6
	v_lshl_or_b32 v9, v9, 9, v2
	v_cndmask_b32_e32 v1, v3, v1, vcc
	v_cmp_eq_u32_e32 vcc, s11, v12
	v_lshrrev_b32_e32 v10, 16, v10
	v_cndmask_b32_e32 v3, v11, v9, vcc
	v_and_or_b32 v1, v6, s14, v1
	v_and_or_b32 v3, v10, s14, v3
	v_and_b32_e32 v1, 0xffff, v1
	v_lshl_or_b32 v1, v3, 16, v1
	global_store_dword v[7:8], v1, off
	global_load_dword v1, v[21:22], off offset:1316
	v_lshrrev_b32_e32 v3, 16, v4
	v_add_co_u32_e32 v7, vcc, s6, v7
	v_addc_co_u32_e32 v8, vcc, v8, v0, vcc
	s_waitcnt vmcnt(0)
	v_mul_f16_sdwa v5, v3, v1 dst_sel:DWORD dst_unused:UNUSED_PAD src0_sel:DWORD src1_sel:WORD_1
	v_fma_f16 v5, v4, v1, v5
	v_mul_f16_sdwa v4, v4, v1 dst_sel:DWORD dst_unused:UNUSED_PAD src0_sel:DWORD src1_sel:WORD_1
	v_cvt_f32_f16_e32 v5, v5
	v_fma_f16 v1, v1, v3, -v4
	v_cvt_f32_f16_e32 v1, v1
	v_cvt_f64_f32_e32 v[3:4], v5
	v_cvt_f64_f32_e32 v[5:6], v1
	v_mul_f64 v[3:4], v[3:4], s[12:13]
	v_mul_f64 v[5:6], v[5:6], s[12:13]
	v_and_or_b32 v1, v4, s15, v3
	v_cmp_ne_u32_e32 vcc, 0, v1
	v_and_or_b32 v5, v6, s15, v5
	v_lshrrev_b32_e32 v3, 8, v4
	v_bfe_u32 v9, v4, 20, 11
	v_cndmask_b32_e64 v1, 0, 1, vcc
	v_cmp_ne_u32_e32 vcc, 0, v5
	v_lshrrev_b32_e32 v10, 8, v6
	v_bfe_u32 v11, v6, 20, 11
	v_sub_u32_e32 v12, 0x3f1, v9
	v_cndmask_b32_e64 v5, 0, 1, vcc
	v_and_or_b32 v1, v3, s10, v1
	v_sub_u32_e32 v13, 0x3f1, v11
	v_med3_i32 v3, v12, 0, 13
	v_and_or_b32 v5, v10, s10, v5
	v_or_b32_e32 v12, 0x1000, v1
	v_add_u32_e32 v9, 0xfffffc10, v9
	v_med3_i32 v10, v13, 0, 13
	v_cmp_ne_u32_e32 vcc, 0, v1
	v_or_b32_e32 v14, 0x1000, v5
	v_lshrrev_b32_e32 v16, v3, v12
	v_add_u32_e32 v11, 0xfffffc10, v11
	v_lshl_or_b32 v13, v9, 12, v1
	v_cndmask_b32_e64 v1, 0, 1, vcc
	v_cmp_ne_u32_e32 vcc, 0, v5
	v_lshrrev_b32_e32 v17, v10, v14
	v_lshlrev_b32_e32 v3, v3, v16
	v_lshl_or_b32 v15, v11, 12, v5
	v_cndmask_b32_e64 v5, 0, 1, vcc
	v_lshlrev_b32_e32 v10, v10, v17
	v_cmp_ne_u32_e32 vcc, v3, v12
	v_cndmask_b32_e64 v3, 0, 1, vcc
	v_cmp_ne_u32_e32 vcc, v10, v14
	v_cndmask_b32_e64 v10, 0, 1, vcc
	v_or_b32_e32 v3, v16, v3
	v_cmp_gt_i32_e32 vcc, 1, v9
	v_cndmask_b32_e32 v3, v13, v3, vcc
	v_or_b32_e32 v10, v17, v10
	v_cmp_gt_i32_e32 vcc, 1, v11
	v_and_b32_e32 v12, 7, v3
	v_cndmask_b32_e32 v10, v15, v10, vcc
	v_cmp_lt_i32_e32 vcc, 5, v12
	v_cmp_eq_u32_e64 s[0:1], 3, v12
	v_lshrrev_b32_e32 v3, 2, v3
	v_and_b32_e32 v13, 7, v10
	s_or_b64 vcc, s[0:1], vcc
	v_cmp_lt_i32_e64 s[2:3], 5, v13
	v_cmp_eq_u32_e64 s[4:5], 3, v13
	v_addc_co_u32_e32 v3, vcc, 0, v3, vcc
	v_lshrrev_b32_e32 v10, 2, v10
	s_or_b64 vcc, s[4:5], s[2:3]
	v_addc_co_u32_e32 v10, vcc, 0, v10, vcc
	v_cmp_gt_i32_e32 vcc, 31, v9
	v_cndmask_b32_e32 v3, v2, v3, vcc
	v_cmp_gt_i32_e32 vcc, 31, v11
	v_lshl_or_b32 v1, v1, 9, v2
	v_cndmask_b32_e32 v10, v2, v10, vcc
	v_cmp_eq_u32_e32 vcc, s11, v9
	v_lshrrev_b32_e32 v4, 16, v4
	v_lshl_or_b32 v5, v5, 9, v2
	v_cndmask_b32_e32 v1, v3, v1, vcc
	v_cmp_eq_u32_e32 vcc, s11, v11
	v_lshrrev_b32_e32 v6, 16, v6
	v_cndmask_b32_e32 v3, v10, v5, vcc
	v_and_or_b32 v1, v4, s14, v1
	v_and_or_b32 v3, v6, s14, v3
	v_and_b32_e32 v1, 0xffff, v1
	v_lshl_or_b32 v1, v3, 16, v1
	global_store_dword v[7:8], v1, off
	global_load_dword v1, v[21:22], off offset:1412
	ds_read2_b32 v[3:4], v24 offset0:97 offset1:121
	v_add_co_u32_e32 v7, vcc, s6, v7
	v_addc_co_u32_e32 v8, vcc, v8, v0, vcc
	s_waitcnt lgkmcnt(0)
	v_lshrrev_b32_e32 v5, 16, v3
	s_waitcnt vmcnt(0)
	v_mul_f16_sdwa v6, v5, v1 dst_sel:DWORD dst_unused:UNUSED_PAD src0_sel:DWORD src1_sel:WORD_1
	v_fma_f16 v6, v3, v1, v6
	v_mul_f16_sdwa v3, v3, v1 dst_sel:DWORD dst_unused:UNUSED_PAD src0_sel:DWORD src1_sel:WORD_1
	v_cvt_f32_f16_e32 v6, v6
	v_fma_f16 v1, v1, v5, -v3
	v_cvt_f32_f16_e32 v1, v1
	v_cvt_f64_f32_e32 v[5:6], v6
	v_cvt_f64_f32_e32 v[9:10], v1
	v_mul_f64 v[5:6], v[5:6], s[12:13]
	v_mul_f64 v[9:10], v[9:10], s[12:13]
	v_and_or_b32 v1, v6, s15, v5
	v_cmp_ne_u32_e32 vcc, 0, v1
	v_and_or_b32 v9, v10, s15, v9
	v_lshrrev_b32_e32 v3, 8, v6
	v_bfe_u32 v5, v6, 20, 11
	v_cndmask_b32_e64 v1, 0, 1, vcc
	v_cmp_ne_u32_e32 vcc, 0, v9
	v_lshrrev_b32_e32 v11, 8, v10
	v_bfe_u32 v12, v10, 20, 11
	v_sub_u32_e32 v13, 0x3f1, v5
	v_cndmask_b32_e64 v9, 0, 1, vcc
	v_and_or_b32 v1, v3, s10, v1
	v_sub_u32_e32 v14, 0x3f1, v12
	v_med3_i32 v3, v13, 0, 13
	v_and_or_b32 v9, v11, s10, v9
	v_or_b32_e32 v13, 0x1000, v1
	v_add_u32_e32 v5, 0xfffffc10, v5
	v_med3_i32 v11, v14, 0, 13
	v_cmp_ne_u32_e32 vcc, 0, v1
	v_or_b32_e32 v15, 0x1000, v9
	v_lshrrev_b32_e32 v17, v3, v13
	v_add_u32_e32 v12, 0xfffffc10, v12
	v_lshl_or_b32 v14, v5, 12, v1
	v_cndmask_b32_e64 v1, 0, 1, vcc
	v_cmp_ne_u32_e32 vcc, 0, v9
	v_lshrrev_b32_e32 v18, v11, v15
	v_lshlrev_b32_e32 v3, v3, v17
	v_lshl_or_b32 v16, v12, 12, v9
	v_cndmask_b32_e64 v9, 0, 1, vcc
	v_lshlrev_b32_e32 v11, v11, v18
	v_cmp_ne_u32_e32 vcc, v3, v13
	v_cndmask_b32_e64 v3, 0, 1, vcc
	v_cmp_ne_u32_e32 vcc, v11, v15
	v_cndmask_b32_e64 v11, 0, 1, vcc
	v_or_b32_e32 v3, v17, v3
	v_cmp_gt_i32_e32 vcc, 1, v5
	v_cndmask_b32_e32 v3, v14, v3, vcc
	v_or_b32_e32 v11, v18, v11
	v_cmp_gt_i32_e32 vcc, 1, v12
	v_and_b32_e32 v13, 7, v3
	v_cndmask_b32_e32 v11, v16, v11, vcc
	v_cmp_lt_i32_e32 vcc, 5, v13
	v_cmp_eq_u32_e64 s[0:1], 3, v13
	v_lshrrev_b32_e32 v3, 2, v3
	v_and_b32_e32 v14, 7, v11
	s_or_b64 vcc, s[0:1], vcc
	v_cmp_lt_i32_e64 s[2:3], 5, v14
	v_cmp_eq_u32_e64 s[4:5], 3, v14
	v_addc_co_u32_e32 v3, vcc, 0, v3, vcc
	v_lshrrev_b32_e32 v11, 2, v11
	s_or_b64 vcc, s[4:5], s[2:3]
	v_addc_co_u32_e32 v11, vcc, 0, v11, vcc
	v_cmp_gt_i32_e32 vcc, 31, v5
	v_cndmask_b32_e32 v3, v2, v3, vcc
	v_cmp_gt_i32_e32 vcc, 31, v12
	v_lshl_or_b32 v1, v1, 9, v2
	v_cndmask_b32_e32 v11, v2, v11, vcc
	v_cmp_eq_u32_e32 vcc, s11, v5
	v_lshrrev_b32_e32 v6, 16, v6
	v_lshl_or_b32 v9, v9, 9, v2
	v_cndmask_b32_e32 v1, v3, v1, vcc
	v_cmp_eq_u32_e32 vcc, s11, v12
	v_lshrrev_b32_e32 v10, 16, v10
	v_cndmask_b32_e32 v3, v11, v9, vcc
	v_and_or_b32 v1, v6, s14, v1
	v_and_or_b32 v3, v10, s14, v3
	v_and_b32_e32 v1, 0xffff, v1
	v_lshl_or_b32 v1, v3, 16, v1
	global_store_dword v[7:8], v1, off
	global_load_dword v1, v[21:22], off offset:1508
	v_lshrrev_b32_e32 v3, 16, v4
	v_add_co_u32_e32 v7, vcc, s6, v7
	v_addc_co_u32_e32 v8, vcc, v8, v0, vcc
	s_waitcnt vmcnt(0)
	v_mul_f16_sdwa v5, v3, v1 dst_sel:DWORD dst_unused:UNUSED_PAD src0_sel:DWORD src1_sel:WORD_1
	v_fma_f16 v5, v4, v1, v5
	v_mul_f16_sdwa v4, v4, v1 dst_sel:DWORD dst_unused:UNUSED_PAD src0_sel:DWORD src1_sel:WORD_1
	v_cvt_f32_f16_e32 v5, v5
	v_fma_f16 v1, v1, v3, -v4
	v_cvt_f32_f16_e32 v1, v1
	v_cvt_f64_f32_e32 v[3:4], v5
	v_cvt_f64_f32_e32 v[5:6], v1
	v_mul_f64 v[3:4], v[3:4], s[12:13]
	v_mul_f64 v[5:6], v[5:6], s[12:13]
	v_and_or_b32 v1, v4, s15, v3
	v_cmp_ne_u32_e32 vcc, 0, v1
	v_and_or_b32 v5, v6, s15, v5
	v_lshrrev_b32_e32 v3, 8, v4
	v_bfe_u32 v9, v4, 20, 11
	v_cndmask_b32_e64 v1, 0, 1, vcc
	v_cmp_ne_u32_e32 vcc, 0, v5
	v_lshrrev_b32_e32 v10, 8, v6
	v_bfe_u32 v11, v6, 20, 11
	v_sub_u32_e32 v12, 0x3f1, v9
	v_cndmask_b32_e64 v5, 0, 1, vcc
	v_and_or_b32 v1, v3, s10, v1
	v_sub_u32_e32 v13, 0x3f1, v11
	v_med3_i32 v3, v12, 0, 13
	v_and_or_b32 v5, v10, s10, v5
	v_or_b32_e32 v12, 0x1000, v1
	v_add_u32_e32 v9, 0xfffffc10, v9
	v_med3_i32 v10, v13, 0, 13
	v_cmp_ne_u32_e32 vcc, 0, v1
	v_or_b32_e32 v14, 0x1000, v5
	v_lshrrev_b32_e32 v16, v3, v12
	v_add_u32_e32 v11, 0xfffffc10, v11
	v_lshl_or_b32 v13, v9, 12, v1
	v_cndmask_b32_e64 v1, 0, 1, vcc
	v_cmp_ne_u32_e32 vcc, 0, v5
	v_lshrrev_b32_e32 v17, v10, v14
	v_lshlrev_b32_e32 v3, v3, v16
	v_lshl_or_b32 v15, v11, 12, v5
	v_cndmask_b32_e64 v5, 0, 1, vcc
	v_lshlrev_b32_e32 v10, v10, v17
	v_cmp_ne_u32_e32 vcc, v3, v12
	v_cndmask_b32_e64 v3, 0, 1, vcc
	v_cmp_ne_u32_e32 vcc, v10, v14
	v_cndmask_b32_e64 v10, 0, 1, vcc
	v_or_b32_e32 v3, v16, v3
	v_cmp_gt_i32_e32 vcc, 1, v9
	v_cndmask_b32_e32 v3, v13, v3, vcc
	v_or_b32_e32 v10, v17, v10
	v_cmp_gt_i32_e32 vcc, 1, v11
	v_and_b32_e32 v12, 7, v3
	v_cndmask_b32_e32 v10, v15, v10, vcc
	v_cmp_lt_i32_e32 vcc, 5, v12
	v_cmp_eq_u32_e64 s[0:1], 3, v12
	v_lshrrev_b32_e32 v3, 2, v3
	v_and_b32_e32 v13, 7, v10
	s_or_b64 vcc, s[0:1], vcc
	v_cmp_lt_i32_e64 s[2:3], 5, v13
	v_cmp_eq_u32_e64 s[4:5], 3, v13
	v_addc_co_u32_e32 v3, vcc, 0, v3, vcc
	v_lshrrev_b32_e32 v10, 2, v10
	s_or_b64 vcc, s[4:5], s[2:3]
	v_addc_co_u32_e32 v10, vcc, 0, v10, vcc
	v_cmp_gt_i32_e32 vcc, 31, v9
	v_cndmask_b32_e32 v3, v2, v3, vcc
	v_cmp_gt_i32_e32 vcc, 31, v11
	v_lshl_or_b32 v1, v1, 9, v2
	v_cndmask_b32_e32 v10, v2, v10, vcc
	v_cmp_eq_u32_e32 vcc, s11, v9
	v_lshrrev_b32_e32 v4, 16, v4
	v_lshl_or_b32 v5, v5, 9, v2
	v_cndmask_b32_e32 v1, v3, v1, vcc
	v_cmp_eq_u32_e32 vcc, s11, v11
	v_lshrrev_b32_e32 v6, 16, v6
	v_cndmask_b32_e32 v3, v10, v5, vcc
	v_and_or_b32 v1, v4, s14, v1
	v_and_or_b32 v3, v6, s14, v3
	v_and_b32_e32 v1, 0xffff, v1
	v_lshl_or_b32 v1, v3, 16, v1
	global_store_dword v[7:8], v1, off
	global_load_dword v1, v[21:22], off offset:1604
	ds_read_b32 v3, v70 offset:1604
	s_waitcnt lgkmcnt(0)
	v_lshrrev_b32_e32 v4, 16, v3
	s_waitcnt vmcnt(0)
	v_mul_f16_sdwa v5, v4, v1 dst_sel:DWORD dst_unused:UNUSED_PAD src0_sel:DWORD src1_sel:WORD_1
	v_fma_f16 v5, v3, v1, v5
	v_mul_f16_sdwa v3, v3, v1 dst_sel:DWORD dst_unused:UNUSED_PAD src0_sel:DWORD src1_sel:WORD_1
	v_cvt_f32_f16_e32 v5, v5
	v_fma_f16 v1, v1, v4, -v3
	v_cvt_f32_f16_e32 v1, v1
	v_cvt_f64_f32_e32 v[3:4], v5
	v_cvt_f64_f32_e32 v[5:6], v1
	v_mul_f64 v[3:4], v[3:4], s[12:13]
	v_mul_f64 v[5:6], v[5:6], s[12:13]
	v_and_or_b32 v1, v4, s15, v3
	v_cmp_ne_u32_e32 vcc, 0, v1
	v_and_or_b32 v5, v6, s15, v5
	v_lshrrev_b32_e32 v3, 8, v4
	v_bfe_u32 v9, v4, 20, 11
	v_cndmask_b32_e64 v1, 0, 1, vcc
	v_cmp_ne_u32_e32 vcc, 0, v5
	v_lshrrev_b32_e32 v10, 8, v6
	v_bfe_u32 v11, v6, 20, 11
	v_sub_u32_e32 v12, 0x3f1, v9
	v_cndmask_b32_e64 v5, 0, 1, vcc
	v_and_or_b32 v1, v3, s10, v1
	v_sub_u32_e32 v13, 0x3f1, v11
	v_med3_i32 v3, v12, 0, 13
	v_and_or_b32 v5, v10, s10, v5
	v_or_b32_e32 v12, 0x1000, v1
	v_add_u32_e32 v9, 0xfffffc10, v9
	v_med3_i32 v10, v13, 0, 13
	v_cmp_ne_u32_e32 vcc, 0, v1
	v_or_b32_e32 v14, 0x1000, v5
	v_lshrrev_b32_e32 v16, v3, v12
	v_add_u32_e32 v11, 0xfffffc10, v11
	v_lshl_or_b32 v13, v9, 12, v1
	v_cndmask_b32_e64 v1, 0, 1, vcc
	v_cmp_ne_u32_e32 vcc, 0, v5
	v_lshrrev_b32_e32 v17, v10, v14
	v_lshlrev_b32_e32 v3, v3, v16
	v_lshl_or_b32 v15, v11, 12, v5
	v_cndmask_b32_e64 v5, 0, 1, vcc
	v_lshlrev_b32_e32 v10, v10, v17
	v_cmp_ne_u32_e32 vcc, v3, v12
	v_cndmask_b32_e64 v3, 0, 1, vcc
	v_cmp_ne_u32_e32 vcc, v10, v14
	v_cndmask_b32_e64 v10, 0, 1, vcc
	v_or_b32_e32 v3, v16, v3
	v_cmp_gt_i32_e32 vcc, 1, v9
	v_cndmask_b32_e32 v3, v13, v3, vcc
	v_or_b32_e32 v10, v17, v10
	v_cmp_gt_i32_e32 vcc, 1, v11
	v_and_b32_e32 v12, 7, v3
	v_cndmask_b32_e32 v10, v15, v10, vcc
	v_cmp_lt_i32_e32 vcc, 5, v12
	v_cmp_eq_u32_e64 s[0:1], 3, v12
	v_lshrrev_b32_e32 v3, 2, v3
	v_and_b32_e32 v13, 7, v10
	s_or_b64 vcc, s[0:1], vcc
	v_cmp_lt_i32_e64 s[2:3], 5, v13
	v_cmp_eq_u32_e64 s[4:5], 3, v13
	v_addc_co_u32_e32 v3, vcc, 0, v3, vcc
	v_lshrrev_b32_e32 v10, 2, v10
	s_or_b64 vcc, s[4:5], s[2:3]
	v_addc_co_u32_e32 v10, vcc, 0, v10, vcc
	v_cmp_gt_i32_e32 vcc, 31, v9
	v_cndmask_b32_e32 v3, v2, v3, vcc
	v_cmp_gt_i32_e32 vcc, 31, v11
	v_lshl_or_b32 v1, v1, 9, v2
	v_lshl_or_b32 v5, v5, 9, v2
	v_cndmask_b32_e32 v2, v2, v10, vcc
	v_cmp_eq_u32_e32 vcc, s11, v9
	v_lshrrev_b32_e32 v4, 16, v4
	v_cndmask_b32_e32 v1, v3, v1, vcc
	v_cmp_eq_u32_e32 vcc, s11, v11
	v_lshrrev_b32_e32 v6, 16, v6
	v_cndmask_b32_e32 v2, v2, v5, vcc
	v_and_or_b32 v1, v4, s14, v1
	v_and_or_b32 v2, v6, s14, v2
	v_and_b32_e32 v1, 0xffff, v1
	v_lshl_or_b32 v3, v2, 16, v1
	v_add_co_u32_e32 v1, vcc, s6, v7
	v_addc_co_u32_e32 v2, vcc, v8, v0, vcc
	global_store_dword v[1:2], v3, off
.LBB0_15:
	s_endpgm
	.section	.rodata,"a",@progbits
	.p2align	6, 0x0
	.amdhsa_kernel bluestein_single_back_len408_dim1_half_op_CI_CI
		.amdhsa_group_segment_fixed_size 4896
		.amdhsa_private_segment_fixed_size 40
		.amdhsa_kernarg_size 104
		.amdhsa_user_sgpr_count 6
		.amdhsa_user_sgpr_private_segment_buffer 1
		.amdhsa_user_sgpr_dispatch_ptr 0
		.amdhsa_user_sgpr_queue_ptr 0
		.amdhsa_user_sgpr_kernarg_segment_ptr 1
		.amdhsa_user_sgpr_dispatch_id 0
		.amdhsa_user_sgpr_flat_scratch_init 0
		.amdhsa_user_sgpr_private_segment_size 0
		.amdhsa_uses_dynamic_stack 0
		.amdhsa_system_sgpr_private_segment_wavefront_offset 1
		.amdhsa_system_sgpr_workgroup_id_x 1
		.amdhsa_system_sgpr_workgroup_id_y 0
		.amdhsa_system_sgpr_workgroup_id_z 0
		.amdhsa_system_sgpr_workgroup_info 0
		.amdhsa_system_vgpr_workitem_id 0
		.amdhsa_next_free_vgpr 256
		.amdhsa_next_free_sgpr 44
		.amdhsa_reserve_vcc 1
		.amdhsa_reserve_flat_scratch 0
		.amdhsa_float_round_mode_32 0
		.amdhsa_float_round_mode_16_64 0
		.amdhsa_float_denorm_mode_32 3
		.amdhsa_float_denorm_mode_16_64 3
		.amdhsa_dx10_clamp 1
		.amdhsa_ieee_mode 1
		.amdhsa_fp16_overflow 0
		.amdhsa_exception_fp_ieee_invalid_op 0
		.amdhsa_exception_fp_denorm_src 0
		.amdhsa_exception_fp_ieee_div_zero 0
		.amdhsa_exception_fp_ieee_overflow 0
		.amdhsa_exception_fp_ieee_underflow 0
		.amdhsa_exception_fp_ieee_inexact 0
		.amdhsa_exception_int_div_zero 0
	.end_amdhsa_kernel
	.text
.Lfunc_end0:
	.size	bluestein_single_back_len408_dim1_half_op_CI_CI, .Lfunc_end0-bluestein_single_back_len408_dim1_half_op_CI_CI
                                        ; -- End function
	.section	.AMDGPU.csdata,"",@progbits
; Kernel info:
; codeLenInByte = 52980
; NumSgprs: 48
; NumVgprs: 256
; ScratchSize: 40
; MemoryBound: 0
; FloatMode: 240
; IeeeMode: 1
; LDSByteSize: 4896 bytes/workgroup (compile time only)
; SGPRBlocks: 5
; VGPRBlocks: 63
; NumSGPRsForWavesPerEU: 48
; NumVGPRsForWavesPerEU: 256
; Occupancy: 1
; WaveLimiterHint : 1
; COMPUTE_PGM_RSRC2:SCRATCH_EN: 1
; COMPUTE_PGM_RSRC2:USER_SGPR: 6
; COMPUTE_PGM_RSRC2:TRAP_HANDLER: 0
; COMPUTE_PGM_RSRC2:TGID_X_EN: 1
; COMPUTE_PGM_RSRC2:TGID_Y_EN: 0
; COMPUTE_PGM_RSRC2:TGID_Z_EN: 0
; COMPUTE_PGM_RSRC2:TIDIG_COMP_CNT: 0
	.type	__hip_cuid_51afe985bd8d6c9d,@object ; @__hip_cuid_51afe985bd8d6c9d
	.section	.bss,"aw",@nobits
	.globl	__hip_cuid_51afe985bd8d6c9d
__hip_cuid_51afe985bd8d6c9d:
	.byte	0                               ; 0x0
	.size	__hip_cuid_51afe985bd8d6c9d, 1

	.ident	"AMD clang version 19.0.0git (https://github.com/RadeonOpenCompute/llvm-project roc-6.4.0 25133 c7fe45cf4b819c5991fe208aaa96edf142730f1d)"
	.section	".note.GNU-stack","",@progbits
	.addrsig
	.addrsig_sym __hip_cuid_51afe985bd8d6c9d
	.amdgpu_metadata
---
amdhsa.kernels:
  - .args:
      - .actual_access:  read_only
        .address_space:  global
        .offset:         0
        .size:           8
        .value_kind:     global_buffer
      - .actual_access:  read_only
        .address_space:  global
        .offset:         8
        .size:           8
        .value_kind:     global_buffer
      - .actual_access:  read_only
        .address_space:  global
        .offset:         16
        .size:           8
        .value_kind:     global_buffer
      - .actual_access:  read_only
        .address_space:  global
        .offset:         24
        .size:           8
        .value_kind:     global_buffer
      - .actual_access:  read_only
        .address_space:  global
        .offset:         32
        .size:           8
        .value_kind:     global_buffer
      - .offset:         40
        .size:           8
        .value_kind:     by_value
      - .address_space:  global
        .offset:         48
        .size:           8
        .value_kind:     global_buffer
      - .address_space:  global
        .offset:         56
        .size:           8
        .value_kind:     global_buffer
      - .address_space:  global
        .offset:         64
        .size:           8
        .value_kind:     global_buffer
      - .address_space:  global
        .offset:         72
        .size:           8
        .value_kind:     global_buffer
      - .offset:         80
        .size:           4
        .value_kind:     by_value
      - .address_space:  global
        .offset:         88
        .size:           8
        .value_kind:     global_buffer
      - .address_space:  global
        .offset:         96
        .size:           8
        .value_kind:     global_buffer
    .group_segment_fixed_size: 4896
    .kernarg_segment_align: 8
    .kernarg_segment_size: 104
    .language:       OpenCL C
    .language_version:
      - 2
      - 0
    .max_flat_workgroup_size: 51
    .name:           bluestein_single_back_len408_dim1_half_op_CI_CI
    .private_segment_fixed_size: 40
    .sgpr_count:     48
    .sgpr_spill_count: 0
    .symbol:         bluestein_single_back_len408_dim1_half_op_CI_CI.kd
    .uniform_work_group_size: 1
    .uses_dynamic_stack: false
    .vgpr_count:     256
    .vgpr_spill_count: 9
    .wavefront_size: 64
amdhsa.target:   amdgcn-amd-amdhsa--gfx906
amdhsa.version:
  - 1
  - 2
...

	.end_amdgpu_metadata
